;; amdgpu-corpus repo=ROCm/rocFFT kind=compiled arch=gfx906 opt=O3
	.text
	.amdgcn_target "amdgcn-amd-amdhsa--gfx906"
	.amdhsa_code_object_version 6
	.protected	fft_rtc_back_len1768_factors_17_13_8_wgs_136_tpt_136_halfLds_sp_op_CI_CI_unitstride_sbrr_R2C_dirReg ; -- Begin function fft_rtc_back_len1768_factors_17_13_8_wgs_136_tpt_136_halfLds_sp_op_CI_CI_unitstride_sbrr_R2C_dirReg
	.globl	fft_rtc_back_len1768_factors_17_13_8_wgs_136_tpt_136_halfLds_sp_op_CI_CI_unitstride_sbrr_R2C_dirReg
	.p2align	8
	.type	fft_rtc_back_len1768_factors_17_13_8_wgs_136_tpt_136_halfLds_sp_op_CI_CI_unitstride_sbrr_R2C_dirReg,@function
fft_rtc_back_len1768_factors_17_13_8_wgs_136_tpt_136_halfLds_sp_op_CI_CI_unitstride_sbrr_R2C_dirReg: ; @fft_rtc_back_len1768_factors_17_13_8_wgs_136_tpt_136_halfLds_sp_op_CI_CI_unitstride_sbrr_R2C_dirReg
; %bb.0:
	s_load_dwordx4 s[8:11], s[4:5], 0x58
	s_load_dwordx4 s[12:15], s[4:5], 0x0
	;; [unrolled: 1-line block ×3, first 2 shown]
	v_mul_u32_u24_e32 v1, 0x1e2, v0
	v_add_u32_sdwa v5, s6, v1 dst_sel:DWORD dst_unused:UNUSED_PAD src0_sel:DWORD src1_sel:WORD_1
	v_mov_b32_e32 v3, 0
	s_waitcnt lgkmcnt(0)
	v_cmp_lt_u64_e64 s[0:1], s[14:15], 2
	v_mov_b32_e32 v1, 0
	v_mov_b32_e32 v6, v3
	s_and_b64 vcc, exec, s[0:1]
	v_mov_b32_e32 v2, 0
	s_cbranch_vccnz .LBB0_8
; %bb.1:
	s_load_dwordx2 s[0:1], s[4:5], 0x10
	s_add_u32 s2, s18, 8
	s_addc_u32 s3, s19, 0
	s_add_u32 s6, s16, 8
	v_mov_b32_e32 v1, 0
	s_addc_u32 s7, s17, 0
	v_mov_b32_e32 v2, 0
	s_waitcnt lgkmcnt(0)
	s_add_u32 s20, s0, 8
	v_mov_b32_e32 v41, v2
	s_addc_u32 s21, s1, 0
	s_mov_b64 s[22:23], 1
	v_mov_b32_e32 v40, v1
.LBB0_2:                                ; =>This Inner Loop Header: Depth=1
	s_load_dwordx2 s[24:25], s[20:21], 0x0
                                        ; implicit-def: $vgpr44_vgpr45
	s_waitcnt lgkmcnt(0)
	v_or_b32_e32 v4, s25, v6
	v_cmp_ne_u64_e32 vcc, 0, v[3:4]
	s_and_saveexec_b64 s[0:1], vcc
	s_xor_b64 s[26:27], exec, s[0:1]
	s_cbranch_execz .LBB0_4
; %bb.3:                                ;   in Loop: Header=BB0_2 Depth=1
	v_cvt_f32_u32_e32 v4, s24
	v_cvt_f32_u32_e32 v7, s25
	s_sub_u32 s0, 0, s24
	s_subb_u32 s1, 0, s25
	v_mac_f32_e32 v4, 0x4f800000, v7
	v_rcp_f32_e32 v4, v4
	v_mul_f32_e32 v4, 0x5f7ffffc, v4
	v_mul_f32_e32 v7, 0x2f800000, v4
	v_trunc_f32_e32 v7, v7
	v_mac_f32_e32 v4, 0xcf800000, v7
	v_cvt_u32_f32_e32 v7, v7
	v_cvt_u32_f32_e32 v4, v4
	v_mul_lo_u32 v8, s0, v7
	v_mul_hi_u32 v9, s0, v4
	v_mul_lo_u32 v11, s1, v4
	v_mul_lo_u32 v10, s0, v4
	v_add_u32_e32 v8, v9, v8
	v_add_u32_e32 v8, v8, v11
	v_mul_hi_u32 v9, v4, v10
	v_mul_lo_u32 v11, v4, v8
	v_mul_hi_u32 v13, v4, v8
	v_mul_hi_u32 v12, v7, v10
	v_mul_lo_u32 v10, v7, v10
	v_mul_hi_u32 v14, v7, v8
	v_add_co_u32_e32 v9, vcc, v9, v11
	v_addc_co_u32_e32 v11, vcc, 0, v13, vcc
	v_mul_lo_u32 v8, v7, v8
	v_add_co_u32_e32 v9, vcc, v9, v10
	v_addc_co_u32_e32 v9, vcc, v11, v12, vcc
	v_addc_co_u32_e32 v10, vcc, 0, v14, vcc
	v_add_co_u32_e32 v8, vcc, v9, v8
	v_addc_co_u32_e32 v9, vcc, 0, v10, vcc
	v_add_co_u32_e32 v4, vcc, v4, v8
	v_addc_co_u32_e32 v7, vcc, v7, v9, vcc
	v_mul_lo_u32 v8, s0, v7
	v_mul_hi_u32 v9, s0, v4
	v_mul_lo_u32 v10, s1, v4
	v_mul_lo_u32 v11, s0, v4
	v_add_u32_e32 v8, v9, v8
	v_add_u32_e32 v8, v8, v10
	v_mul_lo_u32 v12, v4, v8
	v_mul_hi_u32 v13, v4, v11
	v_mul_hi_u32 v14, v4, v8
	v_mul_hi_u32 v10, v7, v11
	v_mul_lo_u32 v11, v7, v11
	v_mul_hi_u32 v9, v7, v8
	v_add_co_u32_e32 v12, vcc, v13, v12
	v_addc_co_u32_e32 v13, vcc, 0, v14, vcc
	v_mul_lo_u32 v8, v7, v8
	v_add_co_u32_e32 v11, vcc, v12, v11
	v_addc_co_u32_e32 v10, vcc, v13, v10, vcc
	v_addc_co_u32_e32 v9, vcc, 0, v9, vcc
	v_add_co_u32_e32 v8, vcc, v10, v8
	v_addc_co_u32_e32 v9, vcc, 0, v9, vcc
	v_add_co_u32_e32 v4, vcc, v4, v8
	v_addc_co_u32_e32 v9, vcc, v7, v9, vcc
	v_mad_u64_u32 v[7:8], s[0:1], v5, v9, 0
	v_mul_hi_u32 v10, v5, v4
	v_add_co_u32_e32 v11, vcc, v10, v7
	v_addc_co_u32_e32 v12, vcc, 0, v8, vcc
	v_mad_u64_u32 v[7:8], s[0:1], v6, v4, 0
	v_mad_u64_u32 v[9:10], s[0:1], v6, v9, 0
	v_add_co_u32_e32 v4, vcc, v11, v7
	v_addc_co_u32_e32 v4, vcc, v12, v8, vcc
	v_addc_co_u32_e32 v7, vcc, 0, v10, vcc
	v_add_co_u32_e32 v4, vcc, v4, v9
	v_addc_co_u32_e32 v9, vcc, 0, v7, vcc
	v_mul_lo_u32 v10, s25, v4
	v_mul_lo_u32 v11, s24, v9
	v_mad_u64_u32 v[7:8], s[0:1], s24, v4, 0
	v_add3_u32 v8, v8, v11, v10
	v_sub_u32_e32 v10, v6, v8
	v_mov_b32_e32 v11, s25
	v_sub_co_u32_e32 v7, vcc, v5, v7
	v_subb_co_u32_e64 v10, s[0:1], v10, v11, vcc
	v_subrev_co_u32_e64 v11, s[0:1], s24, v7
	v_subbrev_co_u32_e64 v10, s[0:1], 0, v10, s[0:1]
	v_cmp_le_u32_e64 s[0:1], s25, v10
	v_cndmask_b32_e64 v12, 0, -1, s[0:1]
	v_cmp_le_u32_e64 s[0:1], s24, v11
	v_cndmask_b32_e64 v11, 0, -1, s[0:1]
	v_cmp_eq_u32_e64 s[0:1], s25, v10
	v_cndmask_b32_e64 v10, v12, v11, s[0:1]
	v_add_co_u32_e64 v11, s[0:1], 2, v4
	v_addc_co_u32_e64 v12, s[0:1], 0, v9, s[0:1]
	v_add_co_u32_e64 v13, s[0:1], 1, v4
	v_addc_co_u32_e64 v14, s[0:1], 0, v9, s[0:1]
	v_subb_co_u32_e32 v8, vcc, v6, v8, vcc
	v_cmp_ne_u32_e64 s[0:1], 0, v10
	v_cmp_le_u32_e32 vcc, s25, v8
	v_cndmask_b32_e64 v10, v14, v12, s[0:1]
	v_cndmask_b32_e64 v12, 0, -1, vcc
	v_cmp_le_u32_e32 vcc, s24, v7
	v_cndmask_b32_e64 v7, 0, -1, vcc
	v_cmp_eq_u32_e32 vcc, s25, v8
	v_cndmask_b32_e32 v7, v12, v7, vcc
	v_cmp_ne_u32_e32 vcc, 0, v7
	v_cndmask_b32_e64 v7, v13, v11, s[0:1]
	v_cndmask_b32_e32 v45, v9, v10, vcc
	v_cndmask_b32_e32 v44, v4, v7, vcc
.LBB0_4:                                ;   in Loop: Header=BB0_2 Depth=1
	s_andn2_saveexec_b64 s[0:1], s[26:27]
	s_cbranch_execz .LBB0_6
; %bb.5:                                ;   in Loop: Header=BB0_2 Depth=1
	v_cvt_f32_u32_e32 v4, s24
	s_sub_i32 s26, 0, s24
	v_mov_b32_e32 v45, v3
	v_rcp_iflag_f32_e32 v4, v4
	v_mul_f32_e32 v4, 0x4f7ffffe, v4
	v_cvt_u32_f32_e32 v4, v4
	v_mul_lo_u32 v7, s26, v4
	v_mul_hi_u32 v7, v4, v7
	v_add_u32_e32 v4, v4, v7
	v_mul_hi_u32 v4, v5, v4
	v_mul_lo_u32 v7, v4, s24
	v_add_u32_e32 v8, 1, v4
	v_sub_u32_e32 v7, v5, v7
	v_subrev_u32_e32 v9, s24, v7
	v_cmp_le_u32_e32 vcc, s24, v7
	v_cndmask_b32_e32 v7, v7, v9, vcc
	v_cndmask_b32_e32 v4, v4, v8, vcc
	v_add_u32_e32 v8, 1, v4
	v_cmp_le_u32_e32 vcc, s24, v7
	v_cndmask_b32_e32 v44, v4, v8, vcc
.LBB0_6:                                ;   in Loop: Header=BB0_2 Depth=1
	s_or_b64 exec, exec, s[0:1]
	v_mul_lo_u32 v4, v45, s24
	v_mul_lo_u32 v9, v44, s25
	v_mad_u64_u32 v[7:8], s[0:1], v44, s24, 0
	s_load_dwordx2 s[0:1], s[6:7], 0x0
	s_load_dwordx2 s[24:25], s[2:3], 0x0
	v_add3_u32 v4, v8, v9, v4
	v_sub_co_u32_e32 v5, vcc, v5, v7
	v_subb_co_u32_e32 v4, vcc, v6, v4, vcc
	s_waitcnt lgkmcnt(0)
	v_mul_lo_u32 v6, s0, v4
	v_mul_lo_u32 v7, s1, v5
	v_mad_u64_u32 v[1:2], s[0:1], s0, v5, v[1:2]
	v_mul_lo_u32 v4, s24, v4
	v_mul_lo_u32 v8, s25, v5
	v_mad_u64_u32 v[40:41], s[0:1], s24, v5, v[40:41]
	s_add_u32 s22, s22, 1
	s_addc_u32 s23, s23, 0
	s_add_u32 s2, s2, 8
	v_add3_u32 v41, v8, v41, v4
	s_addc_u32 s3, s3, 0
	v_mov_b32_e32 v4, s14
	s_add_u32 s6, s6, 8
	v_mov_b32_e32 v5, s15
	s_addc_u32 s7, s7, 0
	v_cmp_ge_u64_e32 vcc, s[22:23], v[4:5]
	s_add_u32 s20, s20, 8
	v_add3_u32 v2, v7, v2, v6
	s_addc_u32 s21, s21, 0
	s_cbranch_vccnz .LBB0_9
; %bb.7:                                ;   in Loop: Header=BB0_2 Depth=1
	v_mov_b32_e32 v5, v44
	v_mov_b32_e32 v6, v45
	s_branch .LBB0_2
.LBB0_8:
	v_mov_b32_e32 v41, v2
	v_mov_b32_e32 v45, v6
	;; [unrolled: 1-line block ×4, first 2 shown]
.LBB0_9:
	s_load_dwordx2 s[4:5], s[4:5], 0x28
	s_lshl_b64 s[6:7], s[14:15], 3
	s_add_u32 s2, s18, s6
	s_addc_u32 s3, s19, s7
                                        ; implicit-def: $vgpr42
	s_waitcnt lgkmcnt(0)
	v_cmp_gt_u64_e64 s[0:1], s[4:5], v[44:45]
	v_cmp_le_u64_e32 vcc, s[4:5], v[44:45]
	s_and_saveexec_b64 s[4:5], vcc
	s_xor_b64 s[4:5], exec, s[4:5]
; %bb.10:
	s_mov_b32 s14, 0x1e1e1e2
	v_mul_hi_u32 v1, v0, s14
	v_mul_u32_u24_e32 v1, 0x88, v1
	v_sub_u32_e32 v42, v0, v1
                                        ; implicit-def: $vgpr0
                                        ; implicit-def: $vgpr1_vgpr2
; %bb.11:
	s_andn2_saveexec_b64 s[4:5], s[4:5]
	s_cbranch_execz .LBB0_13
; %bb.12:
	s_add_u32 s6, s16, s6
	s_addc_u32 s7, s17, s7
	s_load_dwordx2 s[6:7], s[6:7], 0x0
	s_mov_b32 s14, 0x1e1e1e2
	v_mul_hi_u32 v5, v0, s14
	s_waitcnt lgkmcnt(0)
	v_mul_lo_u32 v6, s7, v44
	v_mul_lo_u32 v7, s6, v45
	v_mad_u64_u32 v[3:4], s[6:7], s6, v44, 0
	v_mul_u32_u24_e32 v5, 0x88, v5
	v_sub_u32_e32 v42, v0, v5
	v_add3_u32 v4, v4, v7, v6
	v_lshlrev_b64 v[3:4], 3, v[3:4]
	v_mov_b32_e32 v0, s9
	v_add_co_u32_e32 v3, vcc, s8, v3
	v_addc_co_u32_e32 v4, vcc, v0, v4, vcc
	v_lshlrev_b64 v[0:1], 3, v[1:2]
	v_lshlrev_b32_e32 v30, 3, v42
	v_add_co_u32_e32 v0, vcc, v3, v0
	v_addc_co_u32_e32 v1, vcc, v4, v1, vcc
	v_add_co_u32_e32 v0, vcc, v0, v30
	v_addc_co_u32_e32 v1, vcc, 0, v1, vcc
	s_movk_i32 s6, 0x1000
	v_add_co_u32_e32 v4, vcc, s6, v0
	v_addc_co_u32_e32 v5, vcc, 0, v1, vcc
	s_movk_i32 s6, 0x2000
	global_load_dwordx2 v[2:3], v[0:1], off offset:3264
	global_load_dwordx2 v[6:7], v[4:5], off offset:256
	;; [unrolled: 1-line block ×5, first 2 shown]
	global_load_dwordx2 v[14:15], v[0:1], off
	global_load_dwordx2 v[16:17], v[0:1], off offset:2176
	global_load_dwordx2 v[18:19], v[0:1], off offset:1088
	v_add_co_u32_e32 v4, vcc, s6, v0
	v_addc_co_u32_e32 v5, vcc, 0, v1, vcc
	v_add_co_u32_e32 v0, vcc, 0x3000, v0
	v_addc_co_u32_e32 v1, vcc, 0, v1, vcc
	global_load_dwordx2 v[20:21], v[4:5], off offset:512
	global_load_dwordx2 v[22:23], v[4:5], off offset:1600
	;; [unrolled: 1-line block ×5, first 2 shown]
	v_add_u32_e32 v0, 0, v30
	v_add_u32_e32 v1, 0x800, v0
	;; [unrolled: 1-line block ×6, first 2 shown]
	s_waitcnt vmcnt(6)
	ds_write2_b64 v1, v[16:17], v[2:3] offset0:16 offset1:152
	s_waitcnt vmcnt(5)
	ds_write2_b64 v0, v[14:15], v[18:19] offset1:136
	ds_write2_b64 v4, v[6:7], v[8:9] offset0:32 offset1:168
	ds_write2_b64 v5, v[10:11], v[12:13] offset0:48 offset1:184
	s_waitcnt vmcnt(3)
	ds_write2_b64 v30, v[20:21], v[22:23] offset0:64 offset1:200
	s_waitcnt vmcnt(1)
	;; [unrolled: 2-line block ×3, first 2 shown]
	ds_write_b64 v0, v[28:29] offset:13056
.LBB0_13:
	s_or_b64 exec, exec, s[4:5]
	v_lshl_add_u32 v50, v42, 3, 0
	v_add_u32_e32 v0, 0x400, v50
	s_waitcnt lgkmcnt(0)
	s_barrier
	ds_read2_b64 v[8:11], v50 offset1:104
	ds_read_b64 v[4:5], v50 offset:13312
	ds_read2_b64 v[12:15], v0 offset0:80 offset1:184
	v_add_u32_e32 v0, 0x2c00, v50
	ds_read2_b64 v[16:19], v0 offset0:48 offset1:152
	s_mov_b32 s6, 0x3f3d2fb0
	s_waitcnt lgkmcnt(2)
	v_sub_f32_e32 v58, v11, v5
	v_add_f32_e32 v43, v4, v10
	v_mul_f32_e32 v65, 0xbf2c7751, v58
	s_waitcnt lgkmcnt(0)
	v_sub_f32_e32 v61, v13, v19
	v_fma_f32 v0, v43, s6, -v65
	s_mov_b32 s7, 0x3dbcf732
	v_add_f32_e32 v53, v18, v12
	v_mul_f32_e32 v70, 0xbf7ee86f, v61
	v_add_f32_e32 v67, v5, v11
	v_add_f32_e32 v0, v8, v0
	v_fma_f32 v1, v53, s7, -v70
	v_mul_f32_e32 v75, 0x3f3d2fb0, v67
	v_add_f32_e32 v68, v19, v13
	v_add_f32_e32 v0, v1, v0
	v_sub_f32_e32 v54, v10, v4
	v_mov_b32_e32 v1, v75
	v_mul_f32_e32 v76, 0x3dbcf732, v68
	v_fmac_f32_e32 v1, 0xbf2c7751, v54
	v_sub_f32_e32 v56, v12, v18
	v_mov_b32_e32 v2, v76
	v_sub_f32_e32 v64, v15, v17
	v_add_f32_e32 v1, v9, v1
	v_fmac_f32_e32 v2, 0xbf7ee86f, v56
	s_mov_b32 s8, 0xbf1a4643
	v_add_f32_e32 v55, v16, v14
	v_mul_f32_e32 v77, 0xbf4c4adb, v64
	v_add_f32_e32 v1, v2, v1
	v_fma_f32 v2, v55, s8, -v77
	v_add_f32_e32 v0, v2, v0
	v_add_u32_e32 v2, 0xc00, v50
	v_add_u32_e32 v3, 0x2400, v50
	ds_read2_b64 v[24:27], v2 offset0:32 offset1:136
	ds_read2_b64 v[20:23], v3 offset0:96 offset1:200
	v_add_f32_e32 v72, v17, v15
	v_mul_f32_e32 v81, 0xbf1a4643, v72
	v_sub_f32_e32 v59, v14, v16
	v_mov_b32_e32 v2, v81
	s_waitcnt lgkmcnt(0)
	v_sub_f32_e32 v71, v25, v23
	v_add_u32_e32 v52, 0x1000, v50
	v_fmac_f32_e32 v2, 0xbf4c4adb, v59
	s_mov_b32 s9, 0xbf7ba420
	v_add_f32_e32 v60, v22, v24
	v_mul_f32_e32 v83, 0xbe3c28d5, v71
	v_add_f32_e32 v80, v23, v25
	v_add_u32_e32 v51, 0x2000, v50
	ds_read2_b64 v[32:35], v52 offset0:112 offset1:216
	ds_read2_b64 v[28:31], v51 offset0:16 offset1:120
	v_add_f32_e32 v1, v2, v1
	v_fma_f32 v2, v60, s9, -v83
	v_mul_f32_e32 v87, 0xbf7ba420, v80
	v_add_f32_e32 v0, v2, v0
	v_sub_f32_e32 v62, v24, v22
	v_mov_b32_e32 v2, v87
	v_sub_f32_e32 v78, v27, v21
	v_fmac_f32_e32 v2, 0xbe3c28d5, v62
	s_mov_b32 s14, 0xbf59a7d5
	v_add_f32_e32 v63, v20, v26
	v_mul_f32_e32 v88, 0x3f06c442, v78
	v_add_f32_e32 v86, v21, v27
	v_add_f32_e32 v1, v2, v1
	v_fma_f32 v2, v63, s14, -v88
	v_mul_f32_e32 v91, 0xbf59a7d5, v86
	v_add_f32_e32 v0, v2, v0
	v_sub_f32_e32 v66, v26, v20
	v_mov_b32_e32 v2, v91
	s_waitcnt lgkmcnt(0)
	v_sub_f32_e32 v85, v33, v31
	v_add_u32_e32 v57, 0x1800, v50
	v_fmac_f32_e32 v2, 0x3f06c442, v66
	s_mov_b32 s15, 0xbe8c1d8e
	v_add_f32_e32 v69, v30, v32
	v_mul_f32_e32 v92, 0x3f763a35, v85
	v_add_f32_e32 v90, v31, v33
	ds_read2_b64 v[36:39], v57 offset0:64 offset1:168
	v_add_f32_e32 v1, v2, v1
	v_fma_f32 v2, v69, s15, -v92
	v_mul_f32_e32 v95, 0xbe8c1d8e, v90
	v_add_f32_e32 v0, v2, v0
	v_sub_f32_e32 v73, v32, v30
	v_mov_b32_e32 v2, v95
	v_sub_f32_e32 v89, v35, v29
	v_fmac_f32_e32 v2, 0x3f763a35, v73
	s_mov_b32 s16, 0x3ee437d1
	v_add_f32_e32 v74, v28, v34
	v_mul_f32_e32 v96, 0x3f65296c, v89
	v_add_f32_e32 v93, v29, v35
	v_add_f32_e32 v1, v2, v1
	v_fma_f32 v2, v74, s16, -v96
	v_mul_f32_e32 v98, 0x3ee437d1, v93
	v_add_f32_e32 v0, v2, v0
	v_sub_f32_e32 v79, v34, v28
	v_mov_b32_e32 v2, v98
	s_waitcnt lgkmcnt(0)
	v_add_f32_e32 v97, v39, v37
	v_sub_f32_e32 v94, v37, v39
	v_fmac_f32_e32 v2, 0x3f65296c, v79
	s_mov_b32 s17, 0x3f6eb680
	v_mul_f32_e32 v100, 0x3f6eb680, v97
	v_add_f32_e32 v82, v38, v36
	v_mul_f32_e32 v99, 0x3eb8f4ab, v94
	v_add_f32_e32 v1, v2, v1
	v_sub_f32_e32 v84, v36, v38
	v_mov_b32_e32 v3, v100
	v_fma_f32 v2, v82, s17, -v99
	v_mul_f32_e32 v101, 0xbf65296c, v58
	v_fmac_f32_e32 v3, 0x3eb8f4ab, v84
	v_add_f32_e32 v2, v2, v0
	v_fma_f32 v0, v43, s16, -v101
	v_mul_f32_e32 v102, 0xbf4c4adb, v61
	v_add_f32_e32 v3, v3, v1
	v_add_f32_e32 v0, v8, v0
	v_fma_f32 v1, v53, s8, -v102
	v_mul_f32_e32 v103, 0x3e3c28d5, v64
	v_add_f32_e32 v0, v1, v0
	v_fma_f32 v1, v55, s9, -v103
	v_mul_f32_e32 v104, 0x3f763a35, v71
	;; [unrolled: 3-line block ×7, first 2 shown]
	v_add_f32_e32 v0, v1, v0
	v_mov_b32_e32 v1, v109
	v_mul_f32_e32 v110, 0xbf1a4643, v68
	v_fmac_f32_e32 v1, 0xbf65296c, v54
	v_mov_b32_e32 v6, v110
	v_add_f32_e32 v1, v9, v1
	v_fmac_f32_e32 v6, 0xbf4c4adb, v56
	v_mul_f32_e32 v111, 0xbf7ba420, v72
	v_add_f32_e32 v1, v6, v1
	v_mov_b32_e32 v6, v111
	v_fmac_f32_e32 v6, 0x3e3c28d5, v59
	v_mul_f32_e32 v112, 0xbe8c1d8e, v80
	v_add_f32_e32 v1, v6, v1
	v_mov_b32_e32 v6, v112
	;; [unrolled: 4-line block ×6, first 2 shown]
	v_fmac_f32_e32 v6, 0xbf06c442, v84
	v_mul_f32_e32 v117, 0xbf7ee86f, v58
	v_add_f32_e32 v1, v6, v1
	v_fma_f32 v6, v43, s7, -v117
	v_mul_f32_e32 v118, 0xbe3c28d5, v61
	v_add_f32_e32 v6, v8, v6
	v_fma_f32 v7, v53, s9, -v118
	v_mul_f32_e32 v122, 0x3dbcf732, v67
	v_add_f32_e32 v6, v7, v6
	v_mov_b32_e32 v7, v122
	v_mul_f32_e32 v123, 0xbf7ba420, v68
	v_fmac_f32_e32 v7, 0xbf7ee86f, v54
	v_mov_b32_e32 v46, v123
	v_add_f32_e32 v7, v9, v7
	v_fmac_f32_e32 v46, 0xbe3c28d5, v56
	v_mul_f32_e32 v119, 0x3f763a35, v64
	v_add_f32_e32 v7, v46, v7
	v_fma_f32 v46, v55, s15, -v119
	v_mul_f32_e32 v125, 0xbe8c1d8e, v72
	v_add_f32_e32 v6, v46, v6
	v_mov_b32_e32 v46, v125
	v_fmac_f32_e32 v46, 0x3f763a35, v59
	v_mul_f32_e32 v120, 0x3eb8f4ab, v71
	v_add_f32_e32 v7, v46, v7
	v_fma_f32 v46, v60, s17, -v120
	v_mul_f32_e32 v127, 0x3f6eb680, v80
	v_add_f32_e32 v6, v46, v6
	v_mov_b32_e32 v46, v127
	;; [unrolled: 7-line block ×5, first 2 shown]
	v_fmac_f32_e32 v46, 0x3f4c4adb, v79
	v_mul_f32_e32 v132, 0x3f3d2fb0, v97
	v_add_f32_e32 v7, v46, v7
	v_mov_b32_e32 v46, v132
	v_mul_f32_e32 v129, 0x3f2c7751, v94
	v_fmac_f32_e32 v46, 0x3f2c7751, v84
	v_fma_f32 v47, v82, s6, -v129
	s_movk_i32 s4, 0x68
	v_add_f32_e32 v6, v47, v6
	v_add_f32_e32 v7, v46, v7
	v_cmp_gt_u32_e32 vcc, s4, v42
	s_barrier
	s_and_saveexec_b64 s[4:5], vcc
	s_cbranch_execz .LBB0_15
; %bb.14:
	v_mul_f32_e32 v143, 0xbf763a35, v54
	v_mov_b32_e32 v46, v143
	v_mul_f32_e32 v144, 0x3f06c442, v56
	v_fmac_f32_e32 v46, 0xbe8c1d8e, v67
	v_mov_b32_e32 v47, v144
	v_add_f32_e32 v46, v9, v46
	v_fmac_f32_e32 v47, 0xbf59a7d5, v68
	v_mul_f32_e32 v193, 0x3f2c7751, v59
	v_add_f32_e32 v46, v47, v46
	v_mov_b32_e32 v47, v193
	v_fmac_f32_e32 v47, 0x3f3d2fb0, v72
	v_mul_f32_e32 v194, 0xbf65296c, v62
	v_add_f32_e32 v46, v47, v46
	v_mov_b32_e32 v47, v194
	;; [unrolled: 4-line block ×6, first 2 shown]
	v_fmac_f32_e32 v47, 0xbf1a4643, v97
	v_mul_f32_e32 v199, 0xbf763a35, v58
	v_add_f32_e32 v47, v47, v46
	v_fma_f32 v46, v43, s15, -v199
	v_mul_f32_e32 v200, 0x3f06c442, v61
	v_add_f32_e32 v46, v8, v46
	v_fma_f32 v48, v53, s14, -v200
	;; [unrolled: 3-line block ×8, first 2 shown]
	v_mul_f32_e32 v141, 0xbf4c4adb, v54
	v_add_f32_e32 v46, v48, v46
	v_mov_b32_e32 v48, v141
	v_mul_f32_e32 v142, 0x3f763a35, v56
	v_fmac_f32_e32 v48, 0xbf1a4643, v67
	v_mov_b32_e32 v49, v142
	v_add_f32_e32 v48, v9, v48
	v_fmac_f32_e32 v49, 0xbe8c1d8e, v68
	v_mul_f32_e32 v207, 0xbeb8f4ab, v59
	v_add_f32_e32 v48, v49, v48
	v_mov_b32_e32 v49, v207
	v_fmac_f32_e32 v49, 0x3f6eb680, v72
	v_mul_f32_e32 v208, 0xbf06c442, v62
	v_add_f32_e32 v48, v49, v48
	v_mov_b32_e32 v49, v208
	;; [unrolled: 4-line block ×6, first 2 shown]
	v_fmac_f32_e32 v49, 0x3ee437d1, v97
	v_mul_f32_e32 v213, 0xbf4c4adb, v58
	v_add_f32_e32 v49, v49, v48
	v_fma_f32 v48, v43, s8, -v213
	v_mul_f32_e32 v214, 0x3f763a35, v61
	v_add_f32_e32 v48, v8, v48
	v_fma_f32 v133, v53, s15, -v214
	;; [unrolled: 3-line block ×8, first 2 shown]
	v_mul_f32_e32 v139, 0xbf06c442, v54
	v_add_f32_e32 v48, v133, v48
	v_mov_b32_e32 v133, v139
	v_mul_f32_e32 v140, 0x3f65296c, v56
	v_fmac_f32_e32 v133, 0xbf59a7d5, v67
	v_mov_b32_e32 v134, v140
	v_add_f32_e32 v133, v9, v133
	v_fmac_f32_e32 v134, 0x3ee437d1, v68
	v_mul_f32_e32 v221, 0xbf7ee86f, v59
	v_add_f32_e32 v133, v134, v133
	v_mov_b32_e32 v134, v221
	v_fmac_f32_e32 v134, 0x3dbcf732, v72
	v_mul_f32_e32 v222, 0x3f4c4adb, v62
	v_add_f32_e32 v133, v134, v133
	v_mov_b32_e32 v134, v222
	;; [unrolled: 4-line block ×6, first 2 shown]
	v_fmac_f32_e32 v134, 0xbe8c1d8e, v97
	v_mul_f32_e32 v227, 0xbf06c442, v58
	v_add_f32_e32 v134, v134, v133
	v_fma_f32 v133, v43, s14, -v227
	v_mul_f32_e32 v228, 0x3f65296c, v61
	v_mul_f32_e32 v145, 0x3f3d2fb0, v43
	;; [unrolled: 1-line block ×3, first 2 shown]
	v_add_f32_e32 v133, v8, v133
	v_fma_f32 v135, v53, s16, -v228
	v_mul_f32_e32 v229, 0xbf7ee86f, v64
	v_mul_f32_e32 v151, 0x3dbcf732, v53
	;; [unrolled: 1-line block ×3, first 2 shown]
	v_add_f32_e32 v133, v135, v133
	v_fma_f32 v135, v55, s7, -v229
	v_mul_f32_e32 v230, 0x3f4c4adb, v71
	v_sub_f32_e32 v75, v75, v146
	v_add_f32_e32 v65, v145, v65
	v_mul_f32_e32 v157, 0xbf1a4643, v55
	v_mul_f32_e32 v158, 0xbf4c4adb, v59
	v_add_f32_e32 v133, v135, v133
	v_fma_f32 v135, v60, s8, -v230
	v_mul_f32_e32 v231, 0xbeb8f4ab, v78
	v_add_f32_e32 v75, v9, v75
	v_sub_f32_e32 v76, v76, v152
	v_add_f32_e32 v65, v8, v65
	v_add_f32_e32 v70, v151, v70
	v_mul_f32_e32 v163, 0xbf7ba420, v60
	v_mul_f32_e32 v164, 0xbe3c28d5, v62
	v_add_f32_e32 v133, v135, v133
	v_fma_f32 v135, v63, s17, -v231
	v_mul_f32_e32 v232, 0xbe3c28d5, v85
	v_add_f32_e32 v75, v76, v75
	v_sub_f32_e32 v76, v81, v158
	v_add_f32_e32 v65, v70, v65
	;; [unrolled: 9-line block ×5, first 2 shown]
	v_add_f32_e32 v70, v175, v92
	v_mul_f32_e32 v187, 0x3f6eb680, v82
	v_mul_f32_e32 v188, 0x3eb8f4ab, v84
	v_add_f32_e32 v133, v135, v133
	v_mov_b32_e32 v135, v137
	v_mul_f32_e32 v138, 0x3eb8f4ab, v56
	v_add_f32_e32 v75, v76, v75
	v_sub_f32_e32 v76, v98, v182
	v_add_f32_e32 v65, v70, v65
	v_add_f32_e32 v70, v181, v96
	v_fmac_f32_e32 v135, 0xbf7ba420, v67
	v_mov_b32_e32 v136, v138
	v_fma_f32 v137, v67, s9, -v137
	v_fma_f32 v139, v67, s14, -v139
	;; [unrolled: 1-line block ×4, first 2 shown]
	v_add_f32_e32 v75, v76, v75
	v_sub_f32_e32 v76, v100, v188
	v_add_f32_e32 v65, v70, v65
	v_add_f32_e32 v70, v187, v99
	v_mul_f32_e32 v67, 0x3f6eb680, v67
	v_fmac_f32_e32 v136, 0x3f6eb680, v68
	v_fma_f32 v138, v68, s17, -v138
	v_fma_f32 v140, v68, s16, -v140
	;; [unrolled: 1-line block ×4, first 2 shown]
	v_add_f32_e32 v76, v76, v75
	v_add_f32_e32 v75, v70, v65
	v_mov_b32_e32 v65, v67
	v_mul_f32_e32 v68, 0x3f3d2fb0, v68
	v_fmac_f32_e32 v65, 0x3eb8f4ab, v54
	v_mov_b32_e32 v70, v68
	v_add_f32_e32 v135, v9, v135
	v_mul_f32_e32 v235, 0xbf06c442, v59
	v_add_f32_e32 v65, v9, v65
	v_fmac_f32_e32 v70, 0x3f2c7751, v56
	v_add_f32_e32 v135, v136, v135
	v_mov_b32_e32 v136, v235
	v_add_f32_e32 v137, v9, v137
	v_add_f32_e32 v139, v9, v139
	;; [unrolled: 1-line block ×5, first 2 shown]
	v_mul_f32_e32 v70, 0x3ee437d1, v72
	v_fmac_f32_e32 v136, 0xbf59a7d5, v72
	v_add_f32_e32 v137, v138, v137
	v_fma_f32 v138, v72, s14, -v235
	v_add_f32_e32 v139, v140, v139
	v_fma_f32 v140, v72, s7, -v221
	;; [unrolled: 2-line block ×4, first 2 shown]
	v_mov_b32_e32 v72, v70
	v_fmac_f32_e32 v72, 0x3f65296c, v59
	v_add_f32_e32 v65, v72, v65
	v_mul_f32_e32 v72, 0x3dbcf732, v80
	v_mov_b32_e32 v77, v72
	v_mul_f32_e32 v236, 0x3f2c7751, v62
	v_fmac_f32_e32 v77, 0x3f7ee86f, v62
	v_add_f32_e32 v135, v136, v135
	v_mov_b32_e32 v136, v236
	v_add_f32_e32 v65, v77, v65
	v_mul_f32_e32 v77, 0xbe8c1d8e, v86
	v_fmac_f32_e32 v136, 0x3f3d2fb0, v80
	v_add_f32_e32 v137, v138, v137
	v_fma_f32 v138, v80, s6, -v236
	v_add_f32_e32 v139, v140, v139
	v_fma_f32 v140, v80, s8, -v222
	;; [unrolled: 2-line block ×4, first 2 shown]
	v_mov_b32_e32 v80, v77
	v_fmac_f32_e32 v80, 0x3f763a35, v66
	v_add_f32_e32 v65, v80, v65
	v_mul_f32_e32 v80, 0xbf1a4643, v90
	v_mul_f32_e32 v237, 0xbf4c4adb, v66
	v_mov_b32_e32 v81, v80
	v_add_f32_e32 v135, v136, v135
	v_mov_b32_e32 v136, v237
	v_fmac_f32_e32 v81, 0x3f4c4adb, v73
	v_fmac_f32_e32 v136, 0xbf1a4643, v86
	v_mul_f32_e32 v238, 0x3f65296c, v73
	v_add_f32_e32 v65, v81, v65
	v_mul_f32_e32 v81, 0xbf59a7d5, v93
	v_add_f32_e32 v135, v136, v135
	v_mov_b32_e32 v136, v238
	v_mov_b32_e32 v83, v81
	v_add_f32_e32 v10, v8, v10
	v_fmac_f32_e32 v136, 0x3ee437d1, v90
	v_mul_f32_e32 v239, 0xbf763a35, v79
	v_fmac_f32_e32 v83, 0x3f06c442, v79
	v_add_f32_e32 v10, v10, v12
	v_add_f32_e32 v135, v136, v135
	v_mov_b32_e32 v136, v239
	v_add_f32_e32 v65, v83, v65
	v_mul_f32_e32 v83, 0xbf7ba420, v97
	v_add_f32_e32 v10, v10, v14
	v_fmac_f32_e32 v136, 0xbe8c1d8e, v93
	v_mul_f32_e32 v240, 0x3f7ee86f, v84
	v_add_f32_e32 v137, v138, v137
	v_fma_f32 v138, v86, s8, -v237
	v_add_f32_e32 v139, v140, v139
	v_fma_f32 v140, v86, s17, -v223
	v_add_f32_e32 v141, v142, v141
	v_fma_f32 v142, v86, s7, -v209
	v_add_f32_e32 v143, v144, v143
	v_fma_f32 v144, v86, s9, -v195
	v_mov_b32_e32 v86, v83
	v_add_f32_e32 v10, v10, v24
	v_add_f32_e32 v135, v136, v135
	v_mov_b32_e32 v136, v240
	v_mul_f32_e32 v241, 0xbe3c28d5, v58
	v_fmac_f32_e32 v86, 0x3e3c28d5, v84
	v_mul_f32_e32 v58, 0xbeb8f4ab, v58
	v_add_f32_e32 v10, v10, v26
	v_fmac_f32_e32 v136, 0x3dbcf732, v97
	v_mul_f32_e32 v242, 0x3eb8f4ab, v61
	v_add_f32_e32 v65, v86, v65
	v_mov_b32_e32 v86, v58
	v_mul_f32_e32 v61, 0xbf2c7751, v61
	v_add_f32_e32 v10, v10, v32
	v_add_f32_e32 v136, v136, v135
	v_fma_f32 v135, v43, s9, -v241
	v_fmac_f32_e32 v86, 0x3f6eb680, v43
	v_mov_b32_e32 v87, v61
	v_add_f32_e32 v10, v10, v34
	v_add_f32_e32 v135, v8, v135
	v_fma_f32 v243, v53, s17, -v242
	v_add_f32_e32 v86, v8, v86
	v_fmac_f32_e32 v87, 0x3f3d2fb0, v53
	v_add_f32_e32 v10, v10, v36
	v_add_f32_e32 v135, v243, v135
	v_mul_f32_e32 v243, 0xbf06c442, v64
	v_add_f32_e32 v86, v87, v86
	v_mul_f32_e32 v87, 0xbf65296c, v64
	v_add_f32_e32 v11, v9, v11
	v_add_f32_e32 v10, v10, v38
	v_fma_f32 v244, v55, s14, -v243
	v_mov_b32_e32 v64, v87
	v_add_f32_e32 v11, v11, v13
	v_add_f32_e32 v10, v10, v28
	;; [unrolled: 1-line block ×3, first 2 shown]
	v_mul_f32_e32 v244, 0x3f2c7751, v71
	v_fmac_f32_e32 v64, 0x3ee437d1, v55
	v_mul_f32_e32 v71, 0xbf7ee86f, v71
	v_add_f32_e32 v11, v11, v15
	v_add_f32_e32 v10, v10, v30
	v_fma_f32 v245, v60, s6, -v244
	v_add_f32_e32 v64, v64, v86
	v_mov_b32_e32 v86, v71
	v_add_f32_e32 v11, v11, v25
	v_add_f32_e32 v10, v10, v20
	v_add_f32_e32 v135, v245, v135
	v_mul_f32_e32 v245, 0xbf4c4adb, v78
	v_fmac_f32_e32 v86, 0x3dbcf732, v60
	v_mul_f32_e32 v78, 0xbf763a35, v78
	v_add_f32_e32 v11, v11, v27
	v_add_f32_e32 v10, v10, v22
	v_fma_f32 v246, v63, s8, -v245
	v_add_f32_e32 v137, v138, v137
	v_fma_f32 v138, v90, s16, -v238
	;; [unrolled: 2-line block ×5, first 2 shown]
	v_add_f32_e32 v64, v86, v64
	v_mov_b32_e32 v86, v78
	v_add_f32_e32 v11, v11, v33
	v_add_f32_e32 v10, v10, v16
	v_mul_f32_e32 v147, 0x3ee437d1, v43
	v_mul_f32_e32 v149, 0x3dbcf732, v43
	v_add_f32_e32 v135, v246, v135
	v_mul_f32_e32 v246, 0x3f65296c, v85
	v_add_f32_e32 v137, v138, v137
	v_fma_f32 v138, v93, s15, -v239
	v_add_f32_e32 v139, v140, v139
	v_fma_f32 v140, v93, s6, -v225
	;; [unrolled: 2-line block ×4, first 2 shown]
	v_fmac_f32_e32 v86, 0xbe8c1d8e, v63
	v_mul_f32_e32 v85, 0xbf4c4adb, v85
	v_add_f32_e32 v11, v11, v35
	v_add_f32_e32 v10, v10, v18
	v_mul_f32_e32 v148, 0xbf65296c, v54
	v_mul_f32_e32 v150, 0xbf7ee86f, v54
	v_add_f32_e32 v137, v138, v137
	v_fma_f32 v138, v97, s7, -v240
	v_fmac_f32_e32 v241, 0xbf7ba420, v43
	v_add_f32_e32 v139, v140, v139
	v_fma_f32 v140, v97, s15, -v226
	v_fmac_f32_e32 v227, 0xbf59a7d5, v43
	;; [unrolled: 3-line block ×4, first 2 shown]
	v_add_f32_e32 v117, v149, v117
	v_add_f32_e32 v101, v147, v101
	;; [unrolled: 1-line block ×3, first 2 shown]
	v_mov_b32_e32 v86, v85
	v_add_f32_e32 v11, v11, v37
	v_add_f32_e32 v4, v10, v4
	v_fma_f32 v10, v43, s17, -v58
	v_mul_f32_e32 v153, 0xbf1a4643, v53
	v_mul_f32_e32 v154, 0xbf4c4adb, v56
	;; [unrolled: 1-line block ×4, first 2 shown]
	v_add_f32_e32 v138, v138, v137
	v_add_f32_e32 v137, v8, v241
	;; [unrolled: 1-line block ×8, first 2 shown]
	v_sub_f32_e32 v122, v122, v150
	v_add_f32_e32 v117, v8, v117
	v_sub_f32_e32 v109, v109, v148
	v_add_f32_e32 v101, v8, v101
	v_fmac_f32_e32 v86, 0xbf1a4643, v69
	v_add_f32_e32 v11, v11, v39
	v_fmac_f32_e32 v67, 0xbeb8f4ab, v54
	v_add_f32_e32 v8, v8, v10
	v_fma_f32 v10, v53, s6, -v61
	v_mul_f32_e32 v159, 0xbf7ba420, v55
	v_mul_f32_e32 v160, 0x3e3c28d5, v59
	v_mul_f32_e32 v161, 0xbe8c1d8e, v55
	v_mul_f32_e32 v162, 0x3f763a35, v59
	v_fmac_f32_e32 v242, 0x3f6eb680, v53
	v_fmac_f32_e32 v228, 0x3ee437d1, v53
	;; [unrolled: 1-line block ×4, first 2 shown]
	v_add_f32_e32 v122, v9, v122
	v_sub_f32_e32 v123, v123, v156
	v_add_f32_e32 v118, v155, v118
	v_add_f32_e32 v109, v9, v109
	v_sub_f32_e32 v110, v110, v154
	v_add_f32_e32 v102, v153, v102
	v_add_f32_e32 v64, v86, v64
	v_mul_f32_e32 v86, 0xbf06c442, v89
	v_add_f32_e32 v11, v11, v29
	v_add_f32_e32 v9, v9, v67
	v_fmac_f32_e32 v68, 0xbf2c7751, v56
	v_add_f32_e32 v8, v10, v8
	v_fma_f32 v10, v55, s16, -v87
	v_mul_f32_e32 v165, 0xbe8c1d8e, v60
	v_mul_f32_e32 v166, 0x3f763a35, v62
	;; [unrolled: 1-line block ×4, first 2 shown]
	v_add_f32_e32 v137, v242, v137
	v_fmac_f32_e32 v243, 0xbf59a7d5, v55
	v_add_f32_e32 v139, v228, v139
	v_fmac_f32_e32 v229, 0x3dbcf732, v55
	;; [unrolled: 2-line block ×4, first 2 shown]
	v_add_f32_e32 v122, v123, v122
	v_sub_f32_e32 v123, v125, v162
	v_add_f32_e32 v117, v118, v117
	v_add_f32_e32 v118, v161, v119
	;; [unrolled: 1-line block ×3, first 2 shown]
	v_sub_f32_e32 v110, v111, v160
	v_add_f32_e32 v101, v102, v101
	v_add_f32_e32 v102, v159, v103
	v_mov_b32_e32 v88, v86
	v_add_f32_e32 v11, v11, v31
	v_add_f32_e32 v9, v68, v9
	v_fmac_f32_e32 v70, 0xbf65296c, v59
	v_add_f32_e32 v8, v10, v8
	v_fma_f32 v10, v60, s7, -v71
	v_mul_f32_e32 v171, 0x3f3d2fb0, v63
	v_mul_f32_e32 v172, 0x3f2c7751, v66
	;; [unrolled: 1-line block ×4, first 2 shown]
	v_fma_f32 v247, v69, s16, -v246
	v_add_f32_e32 v137, v243, v137
	v_fmac_f32_e32 v244, 0x3f3d2fb0, v60
	v_add_f32_e32 v139, v229, v139
	v_fmac_f32_e32 v230, 0xbf1a4643, v60
	;; [unrolled: 2-line block ×4, first 2 shown]
	v_add_f32_e32 v122, v123, v122
	v_sub_f32_e32 v123, v127, v168
	v_add_f32_e32 v117, v118, v117
	v_add_f32_e32 v118, v167, v120
	v_add_f32_e32 v109, v110, v109
	v_sub_f32_e32 v110, v112, v166
	v_add_f32_e32 v101, v102, v101
	v_add_f32_e32 v102, v165, v104
	v_fmac_f32_e32 v88, 0xbf59a7d5, v74
	v_add_f32_e32 v11, v11, v21
	v_add_f32_e32 v9, v70, v9
	v_fmac_f32_e32 v72, 0xbf7ee86f, v62
	v_add_f32_e32 v8, v10, v8
	v_fma_f32 v10, v63, s15, -v78
	v_mul_f32_e32 v177, 0x3f6eb680, v69
	v_mul_f32_e32 v178, 0xbeb8f4ab, v73
	;; [unrolled: 1-line block ×4, first 2 shown]
	v_add_f32_e32 v135, v247, v135
	v_mul_f32_e32 v247, 0xbf763a35, v89
	v_add_f32_e32 v137, v244, v137
	v_fmac_f32_e32 v245, 0xbf1a4643, v63
	v_add_f32_e32 v139, v230, v139
	v_fmac_f32_e32 v231, 0x3f6eb680, v63
	v_add_f32_e32 v141, v216, v141
	v_fmac_f32_e32 v217, 0x3dbcf732, v63
	v_add_f32_e32 v143, v202, v143
	v_fmac_f32_e32 v203, 0xbf7ba420, v63
	v_add_f32_e32 v122, v123, v122
	v_sub_f32_e32 v123, v128, v174
	v_add_f32_e32 v117, v118, v117
	v_add_f32_e32 v118, v173, v121
	;; [unrolled: 1-line block ×3, first 2 shown]
	v_sub_f32_e32 v110, v113, v172
	v_add_f32_e32 v101, v102, v101
	v_add_f32_e32 v102, v171, v105
	;; [unrolled: 1-line block ×3, first 2 shown]
	v_mul_f32_e32 v88, 0xbe3c28d5, v94
	v_add_f32_e32 v11, v11, v23
	v_add_f32_e32 v9, v72, v9
	v_fmac_f32_e32 v77, 0xbf763a35, v66
	v_add_f32_e32 v8, v10, v8
	v_fma_f32 v10, v69, s8, -v85
	v_mul_f32_e32 v183, 0x3dbcf732, v74
	v_mul_f32_e32 v184, 0xbf7ee86f, v79
	;; [unrolled: 1-line block ×4, first 2 shown]
	v_fma_f32 v248, v74, s15, -v247
	v_add_f32_e32 v137, v245, v137
	v_fmac_f32_e32 v246, 0x3ee437d1, v69
	v_add_f32_e32 v139, v231, v139
	v_fmac_f32_e32 v232, 0xbf7ba420, v69
	;; [unrolled: 2-line block ×4, first 2 shown]
	v_add_f32_e32 v122, v123, v122
	v_sub_f32_e32 v123, v130, v180
	v_add_f32_e32 v117, v118, v117
	v_add_f32_e32 v118, v179, v124
	;; [unrolled: 1-line block ×3, first 2 shown]
	v_sub_f32_e32 v110, v114, v178
	v_add_f32_e32 v101, v102, v101
	v_add_f32_e32 v102, v177, v106
	v_mov_b32_e32 v89, v88
	v_add_f32_e32 v11, v11, v17
	v_add_f32_e32 v9, v77, v9
	v_fmac_f32_e32 v80, 0xbf4c4adb, v73
	v_add_f32_e32 v8, v10, v8
	v_fma_f32 v10, v74, s14, -v86
	v_mul_f32_e32 v189, 0xbf59a7d5, v82
	v_mul_f32_e32 v190, 0xbf06c442, v84
	;; [unrolled: 1-line block ×4, first 2 shown]
	v_add_f32_e32 v135, v248, v135
	v_mul_f32_e32 v248, 0x3f7ee86f, v94
	v_add_f32_e32 v137, v246, v137
	v_fmac_f32_e32 v247, 0xbe8c1d8e, v74
	v_add_f32_e32 v139, v232, v139
	v_fmac_f32_e32 v233, 0x3f3d2fb0, v74
	;; [unrolled: 2-line block ×4, first 2 shown]
	v_add_f32_e32 v122, v123, v122
	v_sub_f32_e32 v123, v131, v186
	v_add_f32_e32 v117, v118, v117
	v_add_f32_e32 v118, v185, v126
	;; [unrolled: 1-line block ×3, first 2 shown]
	v_sub_f32_e32 v110, v115, v184
	v_add_f32_e32 v101, v102, v101
	v_add_f32_e32 v102, v183, v107
	v_fmac_f32_e32 v89, 0xbf7ba420, v82
	v_add_f32_e32 v11, v11, v19
	v_add_f32_e32 v9, v80, v9
	v_fmac_f32_e32 v81, 0xbf06c442, v79
	v_add_f32_e32 v8, v10, v8
	v_fma_f32 v10, v82, s9, -v88
	v_fma_f32 v249, v82, s7, -v248
	v_add_f32_e32 v137, v247, v137
	v_fmac_f32_e32 v248, 0x3dbcf732, v82
	v_add_f32_e32 v139, v233, v139
	v_fmac_f32_e32 v234, 0xbe8c1d8e, v82
	;; [unrolled: 2-line block ×4, first 2 shown]
	v_add_f32_e32 v122, v123, v122
	v_sub_f32_e32 v123, v132, v192
	v_add_f32_e32 v117, v118, v117
	v_add_f32_e32 v118, v191, v129
	;; [unrolled: 1-line block ×3, first 2 shown]
	v_sub_f32_e32 v110, v116, v190
	v_add_f32_e32 v101, v102, v101
	v_add_f32_e32 v102, v189, v108
	;; [unrolled: 1-line block ×5, first 2 shown]
	v_fmac_f32_e32 v83, 0xbe3c28d5, v84
	v_add_f32_e32 v8, v10, v8
	v_lshl_add_u32 v10, v42, 7, v50
	v_add_f32_e32 v135, v249, v135
	v_add_f32_e32 v137, v248, v137
	;; [unrolled: 1-line block ×10, first 2 shown]
	ds_write2_b64 v10, v[4:5], v[64:65] offset1:1
	ds_write2_b64 v10, v[75:76], v[108:109] offset0:2 offset1:3
	ds_write2_b64 v10, v[121:122], v[143:144] offset0:4 offset1:5
	;; [unrolled: 1-line block ×7, first 2 shown]
	ds_write_b64 v10, v[8:9] offset:128
.LBB0_15:
	s_or_b64 exec, exec, s[4:5]
	s_movk_i32 s4, 0xf1
	v_mul_lo_u16_sdwa v4, v42, s4 dst_sel:DWORD dst_unused:UNUSED_PAD src0_sel:BYTE_0 src1_sel:DWORD
	v_lshrrev_b16_e32 v16, 12, v4
	v_mul_lo_u16_e32 v4, 17, v16
	v_sub_u16_e32 v17, v42, v4
	v_mov_b32_e32 v4, 12
	v_mul_u32_u24_sdwa v4, v17, v4 dst_sel:DWORD dst_unused:UNUSED_PAD src0_sel:BYTE_0 src1_sel:DWORD
	v_lshlrev_b32_e32 v4, 3, v4
	s_load_dwordx2 s[2:3], s[2:3], 0x0
	s_waitcnt lgkmcnt(0)
	s_barrier
	global_load_dwordx4 v[8:11], v4, s[12:13]
	global_load_dwordx4 v[12:15], v4, s[12:13] offset:16
	global_load_dwordx4 v[18:21], v4, s[12:13] offset:32
	;; [unrolled: 1-line block ×5, first 2 shown]
	ds_read2_b64 v[34:37], v50 offset1:136
	v_add_u32_e32 v4, 0x800, v50
	ds_read2_b64 v[46:49], v52 offset0:32 offset1:168
	ds_read2_b64 v[52:55], v57 offset0:48 offset1:184
	;; [unrolled: 1-line block ×3, first 2 shown]
	v_add_u32_e32 v5, 0x2800, v50
	ds_read2_b64 v[60:63], v4 offset0:16 offset1:152
	ds_read_b64 v[38:39], v50 offset:13056
	ds_read2_b64 v[64:67], v5 offset0:80 offset1:216
	s_mov_b32 s6, 0x3f62ad3f
	s_mov_b32 s5, 0x3f116cb1
	;; [unrolled: 1-line block ×6, first 2 shown]
	v_mul_u32_u24_e32 v16, 0x6e8, v16
	s_waitcnt vmcnt(0) lgkmcnt(0)
	s_barrier
	v_mul_f32_e32 v5, v9, v37
	v_mul_f32_e32 v9, v9, v36
	;; [unrolled: 1-line block ×8, first 2 shown]
	v_fmac_f32_e32 v5, v8, v36
	v_fma_f32 v8, v8, v37, -v9
	v_fmac_f32_e32 v43, v10, v60
	v_fma_f32 v9, v10, v61, -v11
	;; [unrolled: 2-line block ×3, first 2 shown]
	v_fma_f32 v12, v49, v18, -v19
	v_add_f32_e32 v19, v8, v35
	v_mul_f32_e32 v68, v15, v47
	v_mul_f32_e32 v15, v15, v46
	v_add_f32_e32 v19, v19, v9
	v_fma_f32 v11, v14, v47, -v15
	v_add_f32_e32 v19, v19, v10
	v_mul_f32_e32 v4, v53, v21
	v_mul_f32_e32 v21, v52, v21
	v_add_f32_e32 v19, v19, v11
	v_mul_f32_e32 v70, v55, v23
	v_mul_f32_e32 v23, v54, v23
	v_fma_f32 v13, v53, v20, -v21
	v_add_f32_e32 v19, v19, v12
	v_mul_f32_e32 v71, v57, v25
	v_mul_f32_e32 v25, v56, v25
	v_fmac_f32_e32 v68, v14, v46
	v_fma_f32 v14, v55, v22, -v23
	v_add_f32_e32 v19, v19, v13
	v_mul_f32_e32 v72, v59, v27
	v_mul_f32_e32 v27, v58, v27
	;; [unrolled: 1-line block ×4, first 2 shown]
	v_fma_f32 v15, v57, v24, -v25
	v_add_f32_e32 v19, v19, v14
	v_mul_f32_e32 v73, v65, v29
	v_mul_f32_e32 v29, v64, v29
	v_fmac_f32_e32 v4, v52, v20
	v_fma_f32 v20, v59, v26, -v27
	v_fma_f32 v23, v39, v32, -v33
	v_add_f32_e32 v19, v19, v15
	v_mul_f32_e32 v74, v67, v31
	v_mul_f32_e32 v31, v66, v31
	v_fma_f32 v21, v65, v28, -v29
	v_fmac_f32_e32 v75, v38, v32
	v_add_f32_e32 v25, v8, v23
	v_add_f32_e32 v19, v19, v20
	v_fmac_f32_e32 v69, v48, v18
	v_fmac_f32_e32 v70, v54, v22
	v_fmac_f32_e32 v71, v56, v24
	v_fma_f32 v22, v67, v30, -v31
	v_add_f32_e32 v18, v5, v34
	v_add_f32_e32 v24, v5, v75
	;; [unrolled: 1-line block ×3, first 2 shown]
	v_sub_f32_e32 v5, v5, v75
	v_mul_f32_e32 v27, 0x3f62ad3f, v25
	v_mul_f32_e32 v31, 0x3f116cb1, v25
	v_mul_f32_e32 v37, 0x3df6dbef, v25
	v_mul_f32_e32 v47, 0xbeb58ec6, v25
	v_mul_f32_e32 v53, 0xbf3f9e67, v25
	v_mul_f32_e32 v25, 0xbf788fa5, v25
	v_fmac_f32_e32 v73, v64, v28
	v_add_f32_e32 v19, v19, v22
	v_sub_f32_e32 v8, v8, v23
	v_mov_b32_e32 v28, v27
	v_mov_b32_e32 v32, v31
	;; [unrolled: 1-line block ×6, first 2 shown]
	v_fmac_f32_e32 v25, 0xbe750f2a, v5
	v_add_f32_e32 v19, v19, v23
	v_mul_f32_e32 v23, 0xbeedf032, v8
	v_fmac_f32_e32 v28, 0x3eedf032, v5
	v_fmac_f32_e32 v27, 0xbeedf032, v5
	v_mul_f32_e32 v29, 0xbf52af12, v8
	v_fmac_f32_e32 v32, 0x3f52af12, v5
	v_fmac_f32_e32 v31, 0xbf52af12, v5
	;; [unrolled: 3-line block ×5, first 2 shown]
	v_mul_f32_e32 v8, 0xbe750f2a, v8
	v_fmac_f32_e32 v56, 0x3e750f2a, v5
	v_add_f32_e32 v5, v25, v35
	v_add_f32_e32 v25, v9, v22
	v_sub_f32_e32 v9, v9, v22
	v_fmac_f32_e32 v72, v58, v26
	v_fmac_f32_e32 v74, v66, v30
	v_mov_b32_e32 v26, v23
	v_mov_b32_e32 v30, v29
	;; [unrolled: 1-line block ×6, first 2 shown]
	v_mul_f32_e32 v22, 0xbf52af12, v9
	v_fmac_f32_e32 v26, 0x3f62ad3f, v24
	v_add_f32_e32 v28, v28, v35
	v_fma_f32 v23, v24, s6, -v23
	v_add_f32_e32 v27, v27, v35
	v_fmac_f32_e32 v30, 0x3f116cb1, v24
	v_add_f32_e32 v32, v32, v35
	v_fma_f32 v29, v24, s5, -v29
	v_add_f32_e32 v31, v31, v35
	;; [unrolled: 4-line block ×6, first 2 shown]
	v_mov_b32_e32 v35, v22
	v_add_f32_e32 v26, v26, v34
	v_fmac_f32_e32 v35, 0x3f116cb1, v24
	v_add_f32_e32 v23, v23, v34
	v_add_f32_e32 v30, v30, v34
	;; [unrolled: 1-line block ×11, first 2 shown]
	v_sub_f32_e32 v34, v43, v74
	v_add_f32_e32 v26, v35, v26
	v_mul_f32_e32 v35, 0x3f116cb1, v25
	v_add_f32_e32 v18, v18, v43
	v_mov_b32_e32 v43, v35
	v_fma_f32 v22, v24, s5, -v22
	v_fmac_f32_e32 v35, 0xbf52af12, v34
	v_add_f32_e32 v22, v22, v23
	v_add_f32_e32 v23, v35, v27
	v_mul_f32_e32 v27, 0xbf6f5d39, v9
	v_mov_b32_e32 v35, v27
	v_fmac_f32_e32 v35, 0xbeb58ec6, v24
	v_fmac_f32_e32 v43, 0x3f52af12, v34
	v_add_f32_e32 v30, v35, v30
	v_mul_f32_e32 v35, 0xbeb58ec6, v25
	v_add_f32_e32 v28, v43, v28
	v_mov_b32_e32 v43, v35
	v_fma_f32 v27, v24, s7, -v27
	v_fmac_f32_e32 v35, 0xbf6f5d39, v34
	v_add_f32_e32 v27, v27, v29
	v_add_f32_e32 v29, v35, v31
	v_mul_f32_e32 v31, 0xbe750f2a, v9
	v_mov_b32_e32 v35, v31
	v_fmac_f32_e32 v35, 0xbf788fa5, v24
	v_fmac_f32_e32 v43, 0x3f6f5d39, v34
	v_add_f32_e32 v35, v35, v36
	v_mul_f32_e32 v36, 0xbf788fa5, v25
	v_add_f32_e32 v32, v43, v32
	v_mov_b32_e32 v43, v36
	v_fma_f32 v31, v24, s9, -v31
	v_fmac_f32_e32 v36, 0xbe750f2a, v34
	v_add_f32_e32 v31, v31, v33
	v_add_f32_e32 v33, v36, v37
	v_mul_f32_e32 v36, 0x3f29c268, v9
	v_fmac_f32_e32 v43, 0x3e750f2a, v34
	v_mov_b32_e32 v37, v36
	v_add_f32_e32 v38, v43, v38
	v_fmac_f32_e32 v37, 0xbf3f9e67, v24
	v_mul_f32_e32 v43, 0xbf3f9e67, v25
	v_add_f32_e32 v37, v37, v46
	v_mov_b32_e32 v46, v43
	v_fma_f32 v36, v24, s8, -v36
	v_fmac_f32_e32 v43, 0x3f29c268, v34
	v_add_f32_e32 v36, v36, v39
	v_add_f32_e32 v39, v43, v47
	v_mul_f32_e32 v43, 0x3f7e222b, v9
	v_fmac_f32_e32 v46, 0xbf29c268, v34
	v_mov_b32_e32 v47, v43
	v_fma_f32 v43, v24, s4, -v43
	v_mul_f32_e32 v9, 0x3eedf032, v9
	v_add_f32_e32 v46, v46, v48
	v_fmac_f32_e32 v47, 0x3df6dbef, v24
	v_mul_f32_e32 v48, 0x3df6dbef, v25
	v_add_f32_e32 v43, v43, v49
	v_mov_b32_e32 v49, v9
	v_add_f32_e32 v47, v47, v52
	v_mov_b32_e32 v52, v48
	v_fmac_f32_e32 v48, 0x3f7e222b, v34
	v_fmac_f32_e32 v49, 0x3f62ad3f, v24
	v_mul_f32_e32 v25, 0x3f62ad3f, v25
	v_fma_f32 v9, v24, s6, -v9
	v_add_f32_e32 v24, v10, v21
	v_sub_f32_e32 v10, v10, v21
	v_add_f32_e32 v48, v48, v53
	v_mov_b32_e32 v53, v25
	v_mul_f32_e32 v21, 0xbf7e222b, v10
	v_fmac_f32_e32 v52, 0xbf7e222b, v34
	v_fmac_f32_e32 v53, 0xbeedf032, v34
	v_add_f32_e32 v8, v9, v8
	v_fmac_f32_e32 v25, 0x3eedf032, v34
	v_add_f32_e32 v9, v51, v73
	v_mov_b32_e32 v34, v21
	v_fmac_f32_e32 v34, 0x3df6dbef, v9
	v_add_f32_e32 v5, v25, v5
	v_sub_f32_e32 v25, v51, v73
	v_add_f32_e32 v26, v34, v26
	v_mul_f32_e32 v34, 0x3df6dbef, v24
	v_add_f32_e32 v18, v18, v51
	v_mov_b32_e32 v51, v34
	v_fma_f32 v21, v9, s4, -v21
	v_fmac_f32_e32 v34, 0xbf7e222b, v25
	v_add_f32_e32 v21, v21, v22
	v_add_f32_e32 v22, v34, v23
	v_mul_f32_e32 v23, 0xbe750f2a, v10
	v_mov_b32_e32 v34, v23
	v_fmac_f32_e32 v34, 0xbf788fa5, v9
	v_fmac_f32_e32 v51, 0x3f7e222b, v25
	v_add_f32_e32 v30, v34, v30
	v_mul_f32_e32 v34, 0xbf788fa5, v24
	v_add_f32_e32 v28, v51, v28
	v_mov_b32_e32 v51, v34
	v_fma_f32 v23, v9, s9, -v23
	v_fmac_f32_e32 v34, 0xbe750f2a, v25
	v_add_f32_e32 v23, v23, v27
	v_add_f32_e32 v27, v34, v29
	v_mul_f32_e32 v29, 0x3f6f5d39, v10
	v_mov_b32_e32 v34, v29
	v_fmac_f32_e32 v34, 0xbeb58ec6, v9
	v_fmac_f32_e32 v51, 0x3e750f2a, v25
	v_add_f32_e32 v34, v34, v35
	v_mul_f32_e32 v35, 0xbeb58ec6, v24
	v_add_f32_e32 v32, v51, v32
	v_mov_b32_e32 v51, v35
	v_fma_f32 v29, v9, s7, -v29
	v_fmac_f32_e32 v35, 0x3f6f5d39, v25
	v_add_f32_e32 v29, v29, v31
	v_add_f32_e32 v31, v35, v33
	v_mul_f32_e32 v33, 0x3eedf032, v10
	v_mov_b32_e32 v35, v33
	v_fmac_f32_e32 v35, 0x3f62ad3f, v9
	v_fmac_f32_e32 v51, 0xbf6f5d39, v25
	v_add_f32_e32 v35, v35, v37
	v_mul_f32_e32 v37, 0x3f62ad3f, v24
	v_add_f32_e32 v38, v51, v38
	v_mov_b32_e32 v51, v37
	v_fma_f32 v33, v9, s6, -v33
	v_fmac_f32_e32 v37, 0x3eedf032, v25
	v_add_f32_e32 v33, v33, v36
	v_add_f32_e32 v36, v37, v39
	v_mul_f32_e32 v37, 0xbf52af12, v10
	v_mov_b32_e32 v39, v37
	v_fmac_f32_e32 v39, 0x3f116cb1, v9
	v_fmac_f32_e32 v51, 0xbeedf032, v25
	v_add_f32_e32 v39, v39, v47
	v_mul_f32_e32 v47, 0x3f116cb1, v24
	v_add_f32_e32 v46, v51, v46
	v_mov_b32_e32 v51, v47
	v_fma_f32 v37, v9, s5, -v37
	v_fmac_f32_e32 v47, 0xbf52af12, v25
	v_mul_f32_e32 v10, 0xbf29c268, v10
	v_add_f32_e32 v37, v37, v43
	v_add_f32_e32 v43, v47, v48
	v_mov_b32_e32 v47, v10
	v_fmac_f32_e32 v47, 0xbf3f9e67, v9
	v_mul_f32_e32 v24, 0xbf3f9e67, v24
	v_fma_f32 v9, v9, s8, -v10
	v_add_f32_e32 v10, v11, v20
	v_sub_f32_e32 v11, v11, v20
	v_mov_b32_e32 v48, v24
	v_mul_f32_e32 v20, 0xbf6f5d39, v11
	v_fmac_f32_e32 v51, 0x3f52af12, v25
	v_fmac_f32_e32 v48, 0x3f29c268, v25
	v_add_f32_e32 v8, v9, v8
	v_fmac_f32_e32 v24, 0xbf29c268, v25
	v_add_f32_e32 v9, v68, v72
	v_mov_b32_e32 v25, v20
	v_fmac_f32_e32 v25, 0xbeb58ec6, v9
	v_add_f32_e32 v49, v49, v55
	v_add_f32_e32 v5, v24, v5
	v_sub_f32_e32 v24, v68, v72
	v_add_f32_e32 v25, v25, v26
	v_mul_f32_e32 v26, 0xbeb58ec6, v10
	v_add_f32_e32 v47, v47, v49
	v_mov_b32_e32 v49, v26
	v_fma_f32 v20, v9, s7, -v20
	v_fmac_f32_e32 v26, 0xbf6f5d39, v24
	v_add_f32_e32 v20, v20, v21
	v_add_f32_e32 v21, v26, v22
	v_mul_f32_e32 v22, 0x3f29c268, v11
	v_mov_b32_e32 v26, v22
	v_fmac_f32_e32 v26, 0xbf3f9e67, v9
	v_fmac_f32_e32 v49, 0x3f6f5d39, v24
	v_add_f32_e32 v26, v26, v30
	v_mul_f32_e32 v30, 0xbf3f9e67, v10
	v_add_f32_e32 v28, v49, v28
	v_mov_b32_e32 v49, v30
	v_fma_f32 v22, v9, s8, -v22
	v_fmac_f32_e32 v30, 0x3f29c268, v24
	v_add_f32_e32 v22, v22, v23
	v_add_f32_e32 v23, v30, v27
	v_mul_f32_e32 v27, 0x3eedf032, v11
	v_mov_b32_e32 v30, v27
	v_fmac_f32_e32 v30, 0x3f62ad3f, v9
	v_fmac_f32_e32 v49, 0xbf29c268, v24
	;; [unrolled: 12-line block ×4, first 2 shown]
	v_add_f32_e32 v36, v36, v39
	v_mul_f32_e32 v39, 0xbf788fa5, v10
	v_add_f32_e32 v46, v49, v46
	v_mov_b32_e32 v49, v39
	v_fma_f32 v35, v9, s9, -v35
	v_fmac_f32_e32 v39, 0x3e750f2a, v24
	v_mul_f32_e32 v10, 0x3f116cb1, v10
	v_add_f32_e32 v35, v35, v37
	v_add_f32_e32 v37, v39, v43
	v_mul_f32_e32 v11, 0x3f52af12, v11
	v_mov_b32_e32 v43, v10
	v_fmac_f32_e32 v10, 0x3f52af12, v24
	v_mov_b32_e32 v39, v11
	v_add_f32_e32 v5, v10, v5
	v_add_f32_e32 v10, v12, v15
	v_sub_f32_e32 v12, v12, v15
	v_fmac_f32_e32 v39, 0x3f116cb1, v9
	v_fma_f32 v9, v9, s5, -v11
	v_mul_f32_e32 v15, 0xbf29c268, v12
	v_fmac_f32_e32 v49, 0xbe750f2a, v24
	v_fmac_f32_e32 v43, 0xbf52af12, v24
	v_add_f32_e32 v8, v9, v8
	v_add_f32_e32 v9, v69, v71
	v_mov_b32_e32 v24, v15
	v_fmac_f32_e32 v24, 0xbf3f9e67, v9
	v_sub_f32_e32 v11, v69, v71
	v_add_f32_e32 v24, v24, v25
	v_mul_f32_e32 v25, 0xbf3f9e67, v10
	v_fma_f32 v15, v9, s8, -v15
	v_add_f32_e32 v39, v39, v47
	v_mov_b32_e32 v47, v25
	v_add_f32_e32 v15, v15, v20
	v_fmac_f32_e32 v25, 0xbf29c268, v11
	v_mul_f32_e32 v20, 0x3f7e222b, v12
	v_add_f32_e32 v25, v25, v21
	v_mov_b32_e32 v21, v20
	v_fmac_f32_e32 v21, 0x3df6dbef, v9
	v_fmac_f32_e32 v47, 0x3f29c268, v11
	v_add_f32_e32 v26, v21, v26
	v_mul_f32_e32 v21, 0x3df6dbef, v10
	v_add_f32_e32 v28, v47, v28
	v_mov_b32_e32 v47, v21
	v_add_f32_e32 v53, v53, v56
	v_fmac_f32_e32 v47, 0xbf7e222b, v11
	v_fma_f32 v20, v9, s4, -v20
	v_add_f32_e32 v48, v48, v53
	v_add_f32_e32 v32, v47, v32
	;; [unrolled: 1-line block ×3, first 2 shown]
	v_fmac_f32_e32 v21, 0x3f7e222b, v11
	v_mul_f32_e32 v20, 0xbf52af12, v12
	v_add_f32_e32 v43, v43, v48
	v_add_f32_e32 v48, v21, v23
	v_mov_b32_e32 v21, v20
	v_fmac_f32_e32 v21, 0x3f116cb1, v9
	v_add_f32_e32 v30, v21, v30
	v_mul_f32_e32 v21, 0x3f116cb1, v10
	v_fma_f32 v20, v9, s5, -v20
	v_mov_b32_e32 v22, v21
	v_add_f32_e32 v27, v20, v27
	v_fmac_f32_e32 v21, 0xbf52af12, v11
	v_mul_f32_e32 v20, 0x3e750f2a, v12
	v_add_f32_e32 v29, v21, v29
	v_mov_b32_e32 v21, v20
	v_fmac_f32_e32 v21, 0xbf788fa5, v9
	v_fmac_f32_e32 v22, 0x3f52af12, v11
	v_add_f32_e32 v34, v21, v34
	v_mul_f32_e32 v21, 0xbf788fa5, v10
	v_fma_f32 v20, v9, s9, -v20
	v_add_f32_e32 v38, v22, v38
	v_mov_b32_e32 v22, v21
	v_add_f32_e32 v31, v20, v31
	v_fmac_f32_e32 v21, 0x3e750f2a, v11
	v_mul_f32_e32 v20, 0x3eedf032, v12
	v_add_f32_e32 v33, v21, v33
	v_mov_b32_e32 v21, v20
	v_fma_f32 v20, v9, s6, -v20
	v_mul_f32_e32 v12, 0xbf6f5d39, v12
	v_add_f32_e32 v18, v18, v68
	v_fmac_f32_e32 v21, 0x3f62ad3f, v9
	v_add_f32_e32 v35, v20, v35
	v_mov_b32_e32 v20, v12
	v_add_f32_e32 v18, v18, v69
	v_add_f32_e32 v36, v21, v36
	v_mul_f32_e32 v21, 0x3f62ad3f, v10
	v_fmac_f32_e32 v20, 0xbeb58ec6, v9
	v_mul_f32_e32 v10, 0xbeb58ec6, v10
	v_sub_f32_e32 v56, v13, v14
	v_add_f32_e32 v18, v18, v4
	v_add_f32_e32 v52, v52, v54
	;; [unrolled: 1-line block ×3, first 2 shown]
	v_mov_b32_e32 v20, v10
	v_fmac_f32_e32 v10, 0xbf6f5d39, v11
	v_add_f32_e32 v53, v4, v70
	v_sub_f32_e32 v55, v4, v70
	v_mul_f32_e32 v4, 0xbe750f2a, v56
	v_add_f32_e32 v51, v51, v52
	v_add_f32_e32 v52, v10, v5
	v_mov_b32_e32 v5, v4
	v_fmac_f32_e32 v20, 0x3f6f5d39, v11
	v_add_f32_e32 v54, v13, v14
	v_fmac_f32_e32 v5, 0xbf788fa5, v53
	v_add_f32_e32 v43, v20, v43
	v_fma_f32 v9, v9, s7, -v12
	v_add_f32_e32 v20, v5, v24
	v_mul_f32_e32 v5, 0xbf788fa5, v54
	v_add_f32_e32 v49, v49, v51
	v_fmac_f32_e32 v22, 0xbe750f2a, v11
	v_add_f32_e32 v51, v9, v8
	v_mov_b32_e32 v8, v5
	v_add_f32_e32 v46, v22, v46
	v_mov_b32_e32 v22, v21
	v_fmac_f32_e32 v21, 0x3eedf032, v11
	v_fmac_f32_e32 v8, 0x3e750f2a, v55
	v_add_f32_e32 v37, v21, v37
	v_add_f32_e32 v21, v8, v28
	v_mul_f32_e32 v8, 0x3eedf032, v56
	v_mov_b32_e32 v9, v8
	v_fmac_f32_e32 v22, 0xbeedf032, v11
	v_fmac_f32_e32 v9, 0x3f62ad3f, v53
	v_add_f32_e32 v49, v22, v49
	v_add_f32_e32 v22, v9, v26
	v_mul_f32_e32 v9, 0x3f62ad3f, v54
	v_fma_f32 v8, v53, s6, -v8
	v_fma_f32 v4, v53, s9, -v4
	v_mov_b32_e32 v10, v9
	v_add_f32_e32 v14, v8, v47
	v_fmac_f32_e32 v9, 0x3eedf032, v55
	v_mul_f32_e32 v8, 0xbf29c268, v56
	v_add_f32_e32 v4, v4, v15
	v_add_f32_e32 v15, v9, v48
	v_mov_b32_e32 v9, v8
	v_fmac_f32_e32 v9, 0xbf3f9e67, v53
	v_fmac_f32_e32 v10, 0xbeedf032, v55
	v_add_f32_e32 v24, v9, v30
	v_mul_f32_e32 v9, 0xbf3f9e67, v54
	v_fma_f32 v8, v53, s8, -v8
	v_add_f32_e32 v23, v10, v32
	v_mov_b32_e32 v10, v9
	v_add_f32_e32 v12, v8, v27
	v_fmac_f32_e32 v9, 0xbf29c268, v55
	v_mul_f32_e32 v8, 0x3f52af12, v56
	v_add_f32_e32 v13, v9, v29
	v_mov_b32_e32 v9, v8
	v_fmac_f32_e32 v9, 0x3f116cb1, v53
	v_fmac_f32_e32 v5, 0xbe750f2a, v55
	;; [unrolled: 1-line block ×3, first 2 shown]
	v_add_f32_e32 v26, v9, v34
	v_mul_f32_e32 v9, 0x3f116cb1, v54
	v_add_f32_e32 v5, v5, v25
	v_add_f32_e32 v25, v10, v38
	v_mov_b32_e32 v10, v9
	v_fmac_f32_e32 v10, 0xbf52af12, v55
	v_fma_f32 v8, v53, s5, -v8
	v_add_f32_e32 v18, v18, v70
	v_add_f32_e32 v27, v10, v46
	;; [unrolled: 1-line block ×3, first 2 shown]
	v_fmac_f32_e32 v9, 0x3f52af12, v55
	v_mul_f32_e32 v8, 0xbf6f5d39, v56
	v_add_f32_e32 v18, v18, v71
	v_add_f32_e32 v11, v9, v33
	v_mov_b32_e32 v9, v8
	v_add_f32_e32 v18, v18, v72
	v_fmac_f32_e32 v9, 0xbeb58ec6, v53
	v_add_f32_e32 v18, v18, v73
	v_add_f32_e32 v28, v9, v36
	v_mul_f32_e32 v9, 0xbeb58ec6, v54
	v_mul_f32_e32 v32, 0x3f7e222b, v56
	;; [unrolled: 1-line block ×3, first 2 shown]
	v_mov_b32_e32 v34, 3
	v_add_f32_e32 v18, v18, v74
	v_mov_b32_e32 v29, v9
	v_mov_b32_e32 v30, v32
	;; [unrolled: 1-line block ×3, first 2 shown]
	v_fma_f32 v32, v53, s4, -v32
	v_fmac_f32_e32 v33, 0x3f7e222b, v55
	v_lshlrev_b32_sdwa v17, v34, v17 dst_sel:DWORD dst_unused:UNUSED_PAD src0_sel:DWORD src1_sel:BYTE_0
	v_add_f32_e32 v18, v18, v75
	v_fmac_f32_e32 v29, 0x3f6f5d39, v55
	v_fma_f32 v8, v53, s7, -v8
	v_fmac_f32_e32 v9, 0xbf6f5d39, v55
	v_fmac_f32_e32 v30, 0x3df6dbef, v53
	;; [unrolled: 1-line block ×3, first 2 shown]
	v_add_f32_e32 v32, v32, v51
	v_add_f32_e32 v33, v33, v52
	v_add3_u32 v16, 0, v16, v17
	v_add_f32_e32 v29, v29, v49
	v_add_f32_e32 v8, v8, v35
	;; [unrolled: 1-line block ×5, first 2 shown]
	ds_write2_b64 v16, v[18:19], v[20:21] offset1:17
	ds_write2_b64 v16, v[22:23], v[24:25] offset0:34 offset1:51
	ds_write2_b64 v16, v[26:27], v[28:29] offset0:68 offset1:85
	;; [unrolled: 1-line block ×5, first 2 shown]
	ds_write_b64 v16, v[4:5] offset:1632
	v_add_u32_e32 v34, 0xd00, v50
	v_add_u32_e32 v33, 0x1b00, v50
	;; [unrolled: 1-line block ×3, first 2 shown]
	s_waitcnt lgkmcnt(0)
	s_barrier
	ds_read2_b64 v[16:19], v50 offset1:221
	ds_read2_b64 v[20:23], v34 offset0:26 offset1:247
	ds_read2_b64 v[24:27], v33 offset0:20 offset1:241
	;; [unrolled: 1-line block ×3, first 2 shown]
	s_movk_i32 s4, 0x55
	v_cmp_gt_u32_e32 vcc, s4, v42
	s_and_saveexec_b64 s[4:5], vcc
	s_cbranch_execz .LBB0_17
; %bb.16:
	v_add_u32_e32 v0, 0x400, v50
	ds_read2_b64 v[8:11], v0 offset0:8 offset1:229
	v_add_u32_e32 v0, 0x1200, v50
	ds_read2_b64 v[12:15], v0 offset0:2 offset1:223
	;; [unrolled: 2-line block ×4, first 2 shown]
.LBB0_17:
	s_or_b64 exec, exec, s[4:5]
	v_mul_u32_u24_e32 v35, 7, v42
	v_lshlrev_b32_e32 v39, 3, v35
	global_load_dwordx4 v[35:38], v39, s[12:13] offset:1632
	global_load_dwordx4 v[46:49], v39, s[12:13] offset:1648
	;; [unrolled: 1-line block ×3, first 2 shown]
	global_load_dwordx2 v[55:56], v39, s[12:13] offset:1680
	s_waitcnt vmcnt(0) lgkmcnt(0)
	s_barrier
	v_mul_f32_e32 v39, v36, v19
	v_mul_f32_e32 v36, v36, v18
	;; [unrolled: 1-line block ×14, first 2 shown]
	v_fmac_f32_e32 v39, v35, v18
	v_fma_f32 v18, v35, v19, -v36
	v_fmac_f32_e32 v43, v37, v20
	v_fma_f32 v19, v37, v21, -v38
	;; [unrolled: 2-line block ×7, first 2 shown]
	v_sub_f32_e32 v25, v16, v58
	v_sub_f32_e32 v21, v17, v21
	;; [unrolled: 1-line block ×8, first 2 shown]
	v_fma_f32 v30, v17, 2.0, -v21
	v_fma_f32 v17, v19, 2.0, -v23
	;; [unrolled: 1-line block ×6, first 2 shown]
	v_add_f32_e32 v35, v25, v23
	v_sub_f32_e32 v36, v21, v26
	v_fma_f32 v29, v16, 2.0, -v25
	v_fma_f32 v16, v43, 2.0, -v26
	v_add_f32_e32 v26, v27, v24
	v_sub_f32_e32 v28, v22, v28
	v_fma_f32 v38, v25, 2.0, -v35
	v_fma_f32 v39, v21, 2.0, -v36
	v_sub_f32_e32 v21, v19, v31
	v_sub_f32_e32 v20, v18, v20
	;; [unrolled: 1-line block ×4, first 2 shown]
	v_fma_f32 v31, v27, 2.0, -v26
	v_fma_f32 v43, v22, 2.0, -v28
	;; [unrolled: 1-line block ×4, first 2 shown]
	v_mov_b32_e32 v18, v38
	v_mov_b32_e32 v19, v39
	;; [unrolled: 1-line block ×4, first 2 shown]
	v_fma_f32 v27, v29, 2.0, -v24
	v_fma_f32 v29, v30, 2.0, -v37
	v_fmac_f32_e32 v18, 0xbf3504f3, v31
	v_fmac_f32_e32 v19, 0xbf3504f3, v43
	;; [unrolled: 1-line block ×4, first 2 shown]
	v_sub_f32_e32 v22, v27, v22
	v_sub_f32_e32 v23, v29, v23
	v_fmac_f32_e32 v18, 0x3f3504f3, v43
	v_fmac_f32_e32 v19, 0xbf3504f3, v31
	v_add_f32_e32 v20, v24, v20
	v_sub_f32_e32 v21, v37, v21
	v_fmac_f32_e32 v16, 0x3f3504f3, v28
	v_fmac_f32_e32 v17, 0xbf3504f3, v26
	v_fma_f32 v26, v27, 2.0, -v22
	v_fma_f32 v27, v29, 2.0, -v23
	;; [unrolled: 1-line block ×8, first 2 shown]
	ds_write2_b64 v50, v[26:27], v[30:31] offset1:221
	ds_write2_b64 v34, v[24:25], v[28:29] offset0:26 offset1:247
	ds_write2_b64 v33, v[22:23], v[18:19] offset0:20 offset1:241
	;; [unrolled: 1-line block ×3, first 2 shown]
	s_and_saveexec_b64 s[4:5], vcc
	s_cbranch_execz .LBB0_19
; %bb.18:
	v_add_u32_e32 v16, 0x88, v42
	v_add_u32_e32 v17, 0xffffffab, v42
	v_cndmask_b32_e32 v16, v17, v16, vcc
	v_mul_i32_i24_e32 v16, 7, v16
	v_mov_b32_e32 v17, 0
	v_lshlrev_b64 v[16:17], 3, v[16:17]
	v_mov_b32_e32 v18, s13
	v_add_co_u32_e32 v28, vcc, s12, v16
	v_addc_co_u32_e32 v29, vcc, v18, v17, vcc
	global_load_dwordx4 v[16:19], v[28:29], off offset:1648
	global_load_dwordx4 v[20:23], v[28:29], off offset:1632
	;; [unrolled: 1-line block ×3, first 2 shown]
	global_load_dwordx2 v[30:31], v[28:29], off offset:1680
	s_waitcnt vmcnt(3)
	v_mul_f32_e32 v28, v4, v19
	s_waitcnt vmcnt(2)
	v_mul_f32_e32 v29, v13, v23
	;; [unrolled: 2-line block ×3, first 2 shown]
	v_mul_f32_e32 v34, v6, v25
	v_mul_f32_e32 v25, v7, v25
	;; [unrolled: 1-line block ×7, first 2 shown]
	s_waitcnt vmcnt(0)
	v_mul_f32_e32 v36, v3, v31
	v_mul_f32_e32 v17, v14, v17
	v_mul_f32_e32 v31, v2, v31
	v_mul_f32_e32 v21, v11, v21
	v_fmac_f32_e32 v25, v6, v24
	v_fma_f32 v6, v13, v22, -v23
	v_fma_f32 v1, v1, v26, -v27
	v_fmac_f32_e32 v19, v4, v18
	v_fma_f32 v5, v5, v18, -v28
	v_fmac_f32_e32 v29, v12, v22
	v_fmac_f32_e32 v32, v0, v26
	;; [unrolled: 1-line block ×3, first 2 shown]
	v_fma_f32 v2, v15, v16, -v17
	v_fma_f32 v3, v3, v30, -v31
	v_fmac_f32_e32 v21, v10, v20
	v_sub_f32_e32 v1, v6, v1
	v_sub_f32_e32 v12, v8, v19
	v_fma_f32 v0, v11, v20, -v33
	v_fma_f32 v7, v7, v24, -v34
	v_fmac_f32_e32 v35, v14, v16
	v_sub_f32_e32 v4, v9, v5
	v_sub_f32_e32 v5, v29, v32
	;; [unrolled: 1-line block ×4, first 2 shown]
	v_add_f32_e32 v16, v12, v1
	v_sub_f32_e32 v7, v0, v7
	v_sub_f32_e32 v10, v35, v36
	;; [unrolled: 1-line block ×3, first 2 shown]
	v_add_f32_e32 v15, v11, v3
	v_fma_f32 v8, v8, 2.0, -v12
	v_fma_f32 v12, v12, 2.0, -v16
	v_sub_f32_e32 v14, v7, v10
	v_fma_f32 v9, v9, 2.0, -v4
	v_fma_f32 v17, v21, 2.0, -v11
	;; [unrolled: 1-line block ×4, first 2 shown]
	v_mov_b32_e32 v4, v12
	v_fma_f32 v6, v6, 2.0, -v1
	v_fma_f32 v10, v35, 2.0, -v10
	v_fma_f32 v5, v29, 2.0, -v5
	v_fma_f32 v18, v0, 2.0, -v7
	v_fma_f32 v2, v2, 2.0, -v3
	v_mov_b32_e32 v0, v16
	v_fma_f32 v22, v7, 2.0, -v14
	v_fmac_f32_e32 v4, 0xbf3504f3, v23
	v_mov_b32_e32 v1, v13
	v_sub_f32_e32 v6, v9, v6
	v_sub_f32_e32 v19, v17, v10
	;; [unrolled: 1-line block ×4, first 2 shown]
	v_fmac_f32_e32 v0, 0x3f3504f3, v15
	v_mov_b32_e32 v5, v21
	v_fmac_f32_e32 v4, 0x3f3504f3, v22
	v_fmac_f32_e32 v1, 0x3f3504f3, v14
	v_fma_f32 v24, v9, 2.0, -v6
	v_fma_f32 v9, v18, 2.0, -v10
	v_fmac_f32_e32 v0, 0x3f3504f3, v14
	v_fmac_f32_e32 v5, 0xbf3504f3, v22
	v_fma_f32 v14, v12, 2.0, -v4
	v_fma_f32 v12, v8, 2.0, -v20
	;; [unrolled: 1-line block ×3, first 2 shown]
	v_fmac_f32_e32 v1, 0xbf3504f3, v15
	v_sub_f32_e32 v9, v24, v9
	v_fmac_f32_e32 v5, 0xbf3504f3, v23
	v_sub_f32_e32 v8, v12, v8
	v_sub_f32_e32 v3, v6, v19
	v_add_f32_e32 v2, v20, v10
	v_fma_f32 v11, v13, 2.0, -v1
	v_fma_f32 v10, v16, 2.0, -v0
	;; [unrolled: 1-line block ×5, first 2 shown]
	v_add_u32_e32 v16, 0x400, v50
	v_fma_f32 v7, v6, 2.0, -v3
	v_fma_f32 v6, v20, 2.0, -v2
	ds_write2_b64 v16, v[12:13], v[14:15] offset0:8 offset1:229
	v_add_u32_e32 v12, 0x1200, v50
	ds_write2_b64 v12, v[6:7], v[10:11] offset0:2 offset1:223
	v_add_u32_e32 v6, 0x1f00, v50
	;; [unrolled: 2-line block ×3, first 2 shown]
	ds_write2_b64 v4, v[2:3], v[0:1] offset0:22 offset1:243
.LBB0_19:
	s_or_b64 exec, exec, s[4:5]
	s_waitcnt lgkmcnt(0)
	s_barrier
	ds_read_b64 v[0:1], v50
	s_add_u32 s6, s12, 0x36b8
	v_lshlrev_b32_e32 v2, 3, v42
	s_addc_u32 s7, s13, 0
	v_sub_u32_e32 v6, 0, v2
	v_cmp_ne_u32_e32 vcc, 0, v42
                                        ; implicit-def: $vgpr3
                                        ; implicit-def: $vgpr7
                                        ; implicit-def: $vgpr4_vgpr5
	s_and_saveexec_b64 s[4:5], vcc
	s_xor_b64 s[4:5], exec, s[4:5]
	s_cbranch_execz .LBB0_21
; %bb.20:
	v_mov_b32_e32 v43, 0
	v_lshlrev_b64 v[2:3], 3, v[42:43]
	v_mov_b32_e32 v4, s7
	v_add_co_u32_e32 v2, vcc, s6, v2
	v_addc_co_u32_e32 v3, vcc, v4, v3, vcc
	global_load_dwordx2 v[2:3], v[2:3], off
	ds_read_b64 v[4:5], v6 offset:14144
	s_waitcnt lgkmcnt(0)
	v_add_f32_e32 v8, v4, v0
	v_sub_f32_e32 v0, v0, v4
	v_add_f32_e32 v7, v5, v1
	v_sub_f32_e32 v1, v1, v5
	v_mul_f32_e32 v0, 0.5, v0
	v_mul_f32_e32 v4, 0.5, v7
	;; [unrolled: 1-line block ×3, first 2 shown]
	s_waitcnt vmcnt(0)
	v_mul_f32_e32 v5, v3, v0
	v_fma_f32 v7, v4, v3, v1
	v_fma_f32 v1, v4, v3, -v1
	v_fma_f32 v9, 0.5, v8, v5
	v_fma_f32 v5, v8, 0.5, -v5
	v_fma_f32 v7, -v2, v0, v7
	v_fma_f32 v3, -v2, v0, v1
	v_fmac_f32_e32 v9, v2, v4
	v_fma_f32 v2, -v2, v4, v5
	v_mov_b32_e32 v4, v42
	ds_write_b32 v50, v9
	v_mov_b32_e32 v5, v43
                                        ; implicit-def: $vgpr0_vgpr1
.LBB0_21:
	s_andn2_saveexec_b64 s[4:5], s[4:5]
	s_cbranch_execz .LBB0_23
; %bb.22:
	v_mov_b32_e32 v7, 0
	ds_read_b32 v3, v7 offset:7076
	v_mov_b32_e32 v4, 0
	s_waitcnt lgkmcnt(1)
	v_add_f32_e32 v8, v0, v1
	v_sub_f32_e32 v2, v0, v1
	v_mov_b32_e32 v5, 0
	s_waitcnt lgkmcnt(0)
	v_xor_b32_e32 v0, 0x80000000, v3
	v_mov_b32_e32 v3, v7
	ds_write_b32 v50, v8
	ds_write_b32 v7, v0 offset:7076
.LBB0_23:
	s_or_b64 exec, exec, s[4:5]
	s_waitcnt lgkmcnt(0)
	v_lshlrev_b64 v[0:1], 3, v[4:5]
	v_mov_b32_e32 v4, s7
	v_add_co_u32_e32 v0, vcc, s6, v0
	v_addc_co_u32_e32 v1, vcc, v4, v1, vcc
	global_load_dwordx2 v[4:5], v[0:1], off offset:1088
	global_load_dwordx2 v[8:9], v[0:1], off offset:2176
	;; [unrolled: 1-line block ×3, first 2 shown]
	s_movk_i32 s4, 0x1000
	v_add_co_u32_e32 v14, vcc, s4, v0
	ds_write_b32 v50, v7 offset:4
	ds_write_b64 v6, v[2:3] offset:14144
	v_addc_co_u32_e32 v15, vcc, 0, v1, vcc
	ds_read_b64 v[2:3], v50 offset:1088
	ds_read_b64 v[12:13], v6 offset:13056
	global_load_dwordx2 v[16:17], v[14:15], off offset:256
	s_movk_i32 s4, 0x44
	v_cmp_gt_u32_e32 vcc, s4, v42
	s_waitcnt lgkmcnt(0)
	v_add_f32_e32 v7, v2, v12
	v_sub_f32_e32 v2, v2, v12
	v_add_f32_e32 v18, v3, v13
	v_sub_f32_e32 v3, v3, v13
	v_mul_f32_e32 v13, 0.5, v2
	v_mul_f32_e32 v12, 0.5, v18
	;; [unrolled: 1-line block ×3, first 2 shown]
	s_waitcnt vmcnt(3)
	v_mul_f32_e32 v18, v5, v13
	v_fma_f32 v3, v12, v5, v2
	v_fma_f32 v5, v12, v5, -v2
	v_fma_f32 v2, 0.5, v7, v18
	v_fma_f32 v3, -v4, v13, v3
	v_fma_f32 v7, v7, 0.5, -v18
	v_fmac_f32_e32 v2, v4, v12
	v_fma_f32 v5, -v4, v13, v5
	v_fma_f32 v4, -v4, v12, v7
	ds_write_b64 v50, v[2:3] offset:1088
	ds_write_b64 v6, v[4:5] offset:13056
	ds_read_b64 v[2:3], v50 offset:2176
	ds_read_b64 v[4:5], v6 offset:11968
	global_load_dwordx2 v[12:13], v[14:15], off offset:1344
	s_waitcnt lgkmcnt(0)
	v_add_f32_e32 v7, v2, v4
	v_sub_f32_e32 v2, v2, v4
	v_add_f32_e32 v14, v3, v5
	v_sub_f32_e32 v3, v3, v5
	v_mul_f32_e32 v5, 0.5, v2
	v_mul_f32_e32 v4, 0.5, v14
	v_mul_f32_e32 v2, 0.5, v3
	s_waitcnt vmcnt(3)
	v_mul_f32_e32 v14, v9, v5
	v_fma_f32 v3, v4, v9, v2
	v_fma_f32 v9, v4, v9, -v2
	v_fma_f32 v2, 0.5, v7, v14
	v_fma_f32 v3, -v8, v5, v3
	v_fma_f32 v7, v7, 0.5, -v14
	v_fmac_f32_e32 v2, v8, v4
	v_fma_f32 v5, -v8, v5, v9
	v_fma_f32 v4, -v8, v4, v7
	ds_write_b64 v50, v[2:3] offset:2176
	ds_write_b64 v6, v[4:5] offset:11968
	ds_read_b64 v[2:3], v50 offset:3264
	ds_read_b64 v[4:5], v6 offset:10880
	s_waitcnt lgkmcnt(0)
	v_add_f32_e32 v7, v2, v4
	v_sub_f32_e32 v2, v2, v4
	v_add_f32_e32 v8, v3, v5
	v_sub_f32_e32 v3, v3, v5
	v_mul_f32_e32 v5, 0.5, v2
	v_mul_f32_e32 v4, 0.5, v8
	v_mul_f32_e32 v2, 0.5, v3
	s_waitcnt vmcnt(2)
	v_mul_f32_e32 v8, v11, v5
	v_fma_f32 v3, v4, v11, v2
	v_fma_f32 v9, v4, v11, -v2
	v_fma_f32 v2, 0.5, v7, v8
	v_fma_f32 v3, -v10, v5, v3
	v_fma_f32 v7, v7, 0.5, -v8
	v_fmac_f32_e32 v2, v10, v4
	v_fma_f32 v5, -v10, v5, v9
	v_fma_f32 v4, -v10, v4, v7
	ds_write_b64 v50, v[2:3] offset:3264
	ds_write_b64 v6, v[4:5] offset:10880
	ds_read_b64 v[2:3], v50 offset:4352
	ds_read_b64 v[4:5], v6 offset:9792
	;; [unrolled: 22-line block ×3, first 2 shown]
	s_waitcnt lgkmcnt(0)
	v_add_f32_e32 v7, v2, v4
	v_sub_f32_e32 v2, v2, v4
	v_add_f32_e32 v8, v3, v5
	v_sub_f32_e32 v3, v3, v5
	v_mul_f32_e32 v5, 0.5, v2
	v_mul_f32_e32 v4, 0.5, v8
	;; [unrolled: 1-line block ×3, first 2 shown]
	s_waitcnt vmcnt(0)
	v_mul_f32_e32 v8, v13, v5
	v_fma_f32 v3, v4, v13, v2
	v_fma_f32 v9, v4, v13, -v2
	v_fma_f32 v2, 0.5, v7, v8
	v_fma_f32 v3, -v12, v5, v3
	v_fma_f32 v7, v7, 0.5, -v8
	v_fmac_f32_e32 v2, v12, v4
	v_fma_f32 v5, -v12, v5, v9
	v_fma_f32 v4, -v12, v4, v7
	ds_write_b64 v50, v[2:3] offset:5440
	ds_write_b64 v6, v[4:5] offset:8704
	s_and_saveexec_b64 s[4:5], vcc
	s_cbranch_execz .LBB0_25
; %bb.24:
	v_add_co_u32_e32 v0, vcc, 0x1000, v0
	v_addc_co_u32_e32 v1, vcc, 0, v1, vcc
	global_load_dwordx2 v[0:1], v[0:1], off offset:2432
	ds_read_b64 v[2:3], v50 offset:6528
	ds_read_b64 v[4:5], v6 offset:7616
	s_waitcnt lgkmcnt(0)
	v_add_f32_e32 v7, v2, v4
	v_sub_f32_e32 v2, v2, v4
	v_add_f32_e32 v8, v3, v5
	v_sub_f32_e32 v3, v3, v5
	v_mul_f32_e32 v4, 0.5, v2
	v_mul_f32_e32 v5, 0.5, v8
	;; [unrolled: 1-line block ×3, first 2 shown]
	s_waitcnt vmcnt(0)
	v_mul_f32_e32 v3, v1, v4
	v_fma_f32 v8, v5, v1, v2
	v_fma_f32 v9, v5, v1, -v2
	v_fma_f32 v1, 0.5, v7, v3
	v_fma_f32 v2, -v0, v4, v8
	v_fma_f32 v3, v7, 0.5, -v3
	v_fmac_f32_e32 v1, v0, v5
	v_fma_f32 v4, -v0, v4, v9
	v_fma_f32 v3, -v0, v5, v3
	ds_write_b64 v50, v[1:2] offset:6528
	ds_write_b64 v6, v[3:4] offset:7616
.LBB0_25:
	s_or_b64 exec, exec, s[4:5]
	s_waitcnt lgkmcnt(0)
	s_barrier
	s_and_saveexec_b64 s[4:5], s[0:1]
	s_cbranch_execz .LBB0_28
; %bb.26:
	v_mul_lo_u32 v2, s3, v44
	v_mul_lo_u32 v3, s2, v45
	v_mad_u64_u32 v[0:1], s[0:1], s2, v44, 0
	v_mov_b32_e32 v6, s11
	v_lshl_add_u32 v8, v42, 3, 0
	v_add3_u32 v1, v1, v3, v2
	v_lshlrev_b64 v[0:1], 3, v[0:1]
	v_mov_b32_e32 v43, 0
	v_add_co_u32_e32 v0, vcc, s10, v0
	v_addc_co_u32_e32 v9, vcc, v6, v1, vcc
	v_lshlrev_b64 v[6:7], 3, v[40:41]
	ds_read2_b64 v[2:5], v8 offset1:136
	v_add_co_u32_e32 v1, vcc, v0, v6
	v_addc_co_u32_e32 v0, vcc, v9, v7, vcc
	v_lshlrev_b64 v[6:7], 3, v[42:43]
	s_movk_i32 s0, 0x87
	v_add_co_u32_e32 v6, vcc, v1, v6
	v_addc_co_u32_e32 v7, vcc, v0, v7, vcc
	s_waitcnt lgkmcnt(0)
	global_store_dwordx2 v[6:7], v[2:3], off
	v_add_u32_e32 v2, 0x88, v42
	v_mov_b32_e32 v3, v43
	v_lshlrev_b64 v[2:3], 3, v[2:3]
	v_add_u32_e32 v6, 0x110, v42
	v_add_co_u32_e32 v2, vcc, v1, v2
	v_addc_co_u32_e32 v3, vcc, v0, v3, vcc
	global_store_dwordx2 v[2:3], v[4:5], off
	v_add_u32_e32 v2, 0x800, v8
	v_mov_b32_e32 v7, v43
	ds_read2_b64 v[2:5], v2 offset0:16 offset1:152
	v_lshlrev_b64 v[6:7], 3, v[6:7]
	v_add_co_u32_e32 v6, vcc, v1, v6
	v_addc_co_u32_e32 v7, vcc, v0, v7, vcc
	s_waitcnt lgkmcnt(0)
	global_store_dwordx2 v[6:7], v[2:3], off
	v_add_u32_e32 v2, 0x198, v42
	v_mov_b32_e32 v3, v43
	v_lshlrev_b64 v[2:3], 3, v[2:3]
	v_add_u32_e32 v6, 0x220, v42
	v_add_co_u32_e32 v2, vcc, v1, v2
	v_addc_co_u32_e32 v3, vcc, v0, v3, vcc
	global_store_dwordx2 v[2:3], v[4:5], off
	v_add_u32_e32 v2, 0x1000, v8
	v_mov_b32_e32 v7, v43
	ds_read2_b64 v[2:5], v2 offset0:32 offset1:168
	v_lshlrev_b64 v[6:7], 3, v[6:7]
	v_add_co_u32_e32 v6, vcc, v1, v6
	v_addc_co_u32_e32 v7, vcc, v0, v7, vcc
	s_waitcnt lgkmcnt(0)
	global_store_dwordx2 v[6:7], v[2:3], off
	v_add_u32_e32 v2, 0x2a8, v42
	v_mov_b32_e32 v3, v43
	v_lshlrev_b64 v[2:3], 3, v[2:3]
	v_add_u32_e32 v6, 0x330, v42
	v_add_co_u32_e32 v2, vcc, v1, v2
	v_addc_co_u32_e32 v3, vcc, v0, v3, vcc
	global_store_dwordx2 v[2:3], v[4:5], off
	v_add_u32_e32 v2, 0x1800, v8
	v_mov_b32_e32 v7, v43
	ds_read2_b64 v[2:5], v2 offset0:48 offset1:184
	v_lshlrev_b64 v[6:7], 3, v[6:7]
	v_add_co_u32_e32 v6, vcc, v1, v6
	v_addc_co_u32_e32 v7, vcc, v0, v7, vcc
	s_waitcnt lgkmcnt(0)
	global_store_dwordx2 v[6:7], v[2:3], off
	v_add_u32_e32 v2, 0x3b8, v42
	v_mov_b32_e32 v3, v43
	v_lshlrev_b64 v[2:3], 3, v[2:3]
	v_add_u32_e32 v6, 0x440, v42
	v_add_co_u32_e32 v2, vcc, v1, v2
	v_addc_co_u32_e32 v3, vcc, v0, v3, vcc
	global_store_dwordx2 v[2:3], v[4:5], off
	v_add_u32_e32 v2, 0x2000, v8
	v_mov_b32_e32 v7, v43
	ds_read2_b64 v[2:5], v2 offset0:64 offset1:200
	v_lshlrev_b64 v[6:7], 3, v[6:7]
	v_add_co_u32_e32 v6, vcc, v1, v6
	v_addc_co_u32_e32 v7, vcc, v0, v7, vcc
	s_waitcnt lgkmcnt(0)
	global_store_dwordx2 v[6:7], v[2:3], off
	v_add_u32_e32 v2, 0x4c8, v42
	v_mov_b32_e32 v3, v43
	v_lshlrev_b64 v[2:3], 3, v[2:3]
	v_add_u32_e32 v6, 0x550, v42
	v_add_co_u32_e32 v2, vcc, v1, v2
	v_addc_co_u32_e32 v3, vcc, v0, v3, vcc
	global_store_dwordx2 v[2:3], v[4:5], off
	v_add_u32_e32 v2, 0x2800, v8
	v_mov_b32_e32 v7, v43
	ds_read2_b64 v[2:5], v2 offset0:80 offset1:216
	v_lshlrev_b64 v[6:7], 3, v[6:7]
	v_add_co_u32_e32 v6, vcc, v1, v6
	v_addc_co_u32_e32 v7, vcc, v0, v7, vcc
	s_waitcnt lgkmcnt(0)
	global_store_dwordx2 v[6:7], v[2:3], off
	v_add_u32_e32 v2, 0x5d8, v42
	v_mov_b32_e32 v3, v43
	v_lshlrev_b64 v[2:3], 3, v[2:3]
	v_add_co_u32_e32 v2, vcc, v1, v2
	v_addc_co_u32_e32 v3, vcc, v0, v3, vcc
	global_store_dwordx2 v[2:3], v[4:5], off
	v_add_u32_e32 v2, 0x660, v42
	v_mov_b32_e32 v3, v43
	ds_read_b64 v[4:5], v8 offset:13056
	v_lshlrev_b64 v[2:3], 3, v[2:3]
	v_add_co_u32_e32 v2, vcc, v1, v2
	v_addc_co_u32_e32 v3, vcc, v0, v3, vcc
	v_cmp_eq_u32_e32 vcc, s0, v42
	s_waitcnt lgkmcnt(0)
	global_store_dwordx2 v[2:3], v[4:5], off
	s_and_b64 exec, exec, vcc
	s_cbranch_execz .LBB0_28
; %bb.27:
	ds_read_b64 v[2:3], v43 offset:14144
	v_add_co_u32_e32 v4, vcc, 0x3000, v1
	v_addc_co_u32_e32 v5, vcc, 0, v0, vcc
	s_waitcnt lgkmcnt(0)
	global_store_dwordx2 v[4:5], v[2:3], off offset:1856
.LBB0_28:
	s_endpgm
	.section	.rodata,"a",@progbits
	.p2align	6, 0x0
	.amdhsa_kernel fft_rtc_back_len1768_factors_17_13_8_wgs_136_tpt_136_halfLds_sp_op_CI_CI_unitstride_sbrr_R2C_dirReg
		.amdhsa_group_segment_fixed_size 0
		.amdhsa_private_segment_fixed_size 0
		.amdhsa_kernarg_size 104
		.amdhsa_user_sgpr_count 6
		.amdhsa_user_sgpr_private_segment_buffer 1
		.amdhsa_user_sgpr_dispatch_ptr 0
		.amdhsa_user_sgpr_queue_ptr 0
		.amdhsa_user_sgpr_kernarg_segment_ptr 1
		.amdhsa_user_sgpr_dispatch_id 0
		.amdhsa_user_sgpr_flat_scratch_init 0
		.amdhsa_user_sgpr_private_segment_size 0
		.amdhsa_uses_dynamic_stack 0
		.amdhsa_system_sgpr_private_segment_wavefront_offset 0
		.amdhsa_system_sgpr_workgroup_id_x 1
		.amdhsa_system_sgpr_workgroup_id_y 0
		.amdhsa_system_sgpr_workgroup_id_z 0
		.amdhsa_system_sgpr_workgroup_info 0
		.amdhsa_system_vgpr_workitem_id 0
		.amdhsa_next_free_vgpr 250
		.amdhsa_next_free_sgpr 28
		.amdhsa_reserve_vcc 1
		.amdhsa_reserve_flat_scratch 0
		.amdhsa_float_round_mode_32 0
		.amdhsa_float_round_mode_16_64 0
		.amdhsa_float_denorm_mode_32 3
		.amdhsa_float_denorm_mode_16_64 3
		.amdhsa_dx10_clamp 1
		.amdhsa_ieee_mode 1
		.amdhsa_fp16_overflow 0
		.amdhsa_exception_fp_ieee_invalid_op 0
		.amdhsa_exception_fp_denorm_src 0
		.amdhsa_exception_fp_ieee_div_zero 0
		.amdhsa_exception_fp_ieee_overflow 0
		.amdhsa_exception_fp_ieee_underflow 0
		.amdhsa_exception_fp_ieee_inexact 0
		.amdhsa_exception_int_div_zero 0
	.end_amdhsa_kernel
	.text
.Lfunc_end0:
	.size	fft_rtc_back_len1768_factors_17_13_8_wgs_136_tpt_136_halfLds_sp_op_CI_CI_unitstride_sbrr_R2C_dirReg, .Lfunc_end0-fft_rtc_back_len1768_factors_17_13_8_wgs_136_tpt_136_halfLds_sp_op_CI_CI_unitstride_sbrr_R2C_dirReg
                                        ; -- End function
	.section	.AMDGPU.csdata,"",@progbits
; Kernel info:
; codeLenInByte = 13380
; NumSgprs: 32
; NumVgprs: 250
; ScratchSize: 0
; MemoryBound: 0
; FloatMode: 240
; IeeeMode: 1
; LDSByteSize: 0 bytes/workgroup (compile time only)
; SGPRBlocks: 3
; VGPRBlocks: 62
; NumSGPRsForWavesPerEU: 32
; NumVGPRsForWavesPerEU: 250
; Occupancy: 1
; WaveLimiterHint : 1
; COMPUTE_PGM_RSRC2:SCRATCH_EN: 0
; COMPUTE_PGM_RSRC2:USER_SGPR: 6
; COMPUTE_PGM_RSRC2:TRAP_HANDLER: 0
; COMPUTE_PGM_RSRC2:TGID_X_EN: 1
; COMPUTE_PGM_RSRC2:TGID_Y_EN: 0
; COMPUTE_PGM_RSRC2:TGID_Z_EN: 0
; COMPUTE_PGM_RSRC2:TIDIG_COMP_CNT: 0
	.type	__hip_cuid_5e07fe02f6926370,@object ; @__hip_cuid_5e07fe02f6926370
	.section	.bss,"aw",@nobits
	.globl	__hip_cuid_5e07fe02f6926370
__hip_cuid_5e07fe02f6926370:
	.byte	0                               ; 0x0
	.size	__hip_cuid_5e07fe02f6926370, 1

	.ident	"AMD clang version 19.0.0git (https://github.com/RadeonOpenCompute/llvm-project roc-6.4.0 25133 c7fe45cf4b819c5991fe208aaa96edf142730f1d)"
	.section	".note.GNU-stack","",@progbits
	.addrsig
	.addrsig_sym __hip_cuid_5e07fe02f6926370
	.amdgpu_metadata
---
amdhsa.kernels:
  - .args:
      - .actual_access:  read_only
        .address_space:  global
        .offset:         0
        .size:           8
        .value_kind:     global_buffer
      - .offset:         8
        .size:           8
        .value_kind:     by_value
      - .actual_access:  read_only
        .address_space:  global
        .offset:         16
        .size:           8
        .value_kind:     global_buffer
      - .actual_access:  read_only
        .address_space:  global
        .offset:         24
        .size:           8
        .value_kind:     global_buffer
      - .actual_access:  read_only
        .address_space:  global
        .offset:         32
        .size:           8
        .value_kind:     global_buffer
      - .offset:         40
        .size:           8
        .value_kind:     by_value
      - .actual_access:  read_only
        .address_space:  global
        .offset:         48
        .size:           8
        .value_kind:     global_buffer
      - .actual_access:  read_only
        .address_space:  global
        .offset:         56
        .size:           8
        .value_kind:     global_buffer
      - .offset:         64
        .size:           4
        .value_kind:     by_value
      - .actual_access:  read_only
        .address_space:  global
        .offset:         72
        .size:           8
        .value_kind:     global_buffer
      - .actual_access:  read_only
        .address_space:  global
        .offset:         80
        .size:           8
        .value_kind:     global_buffer
      - .actual_access:  read_only
        .address_space:  global
        .offset:         88
        .size:           8
        .value_kind:     global_buffer
      - .actual_access:  write_only
        .address_space:  global
        .offset:         96
        .size:           8
        .value_kind:     global_buffer
    .group_segment_fixed_size: 0
    .kernarg_segment_align: 8
    .kernarg_segment_size: 104
    .language:       OpenCL C
    .language_version:
      - 2
      - 0
    .max_flat_workgroup_size: 136
    .name:           fft_rtc_back_len1768_factors_17_13_8_wgs_136_tpt_136_halfLds_sp_op_CI_CI_unitstride_sbrr_R2C_dirReg
    .private_segment_fixed_size: 0
    .sgpr_count:     32
    .sgpr_spill_count: 0
    .symbol:         fft_rtc_back_len1768_factors_17_13_8_wgs_136_tpt_136_halfLds_sp_op_CI_CI_unitstride_sbrr_R2C_dirReg.kd
    .uniform_work_group_size: 1
    .uses_dynamic_stack: false
    .vgpr_count:     250
    .vgpr_spill_count: 0
    .wavefront_size: 64
amdhsa.target:   amdgcn-amd-amdhsa--gfx906
amdhsa.version:
  - 1
  - 2
...

	.end_amdgpu_metadata
